;; amdgpu-corpus repo=ROCm/rocFFT kind=compiled arch=gfx906 opt=O3
	.text
	.amdgcn_target "amdgcn-amd-amdhsa--gfx906"
	.amdhsa_code_object_version 6
	.protected	fft_rtc_fwd_len1326_factors_17_6_13_wgs_204_tpt_102_halfLds_sp_op_CI_CI_unitstride_sbrr_dirReg ; -- Begin function fft_rtc_fwd_len1326_factors_17_6_13_wgs_204_tpt_102_halfLds_sp_op_CI_CI_unitstride_sbrr_dirReg
	.globl	fft_rtc_fwd_len1326_factors_17_6_13_wgs_204_tpt_102_halfLds_sp_op_CI_CI_unitstride_sbrr_dirReg
	.p2align	8
	.type	fft_rtc_fwd_len1326_factors_17_6_13_wgs_204_tpt_102_halfLds_sp_op_CI_CI_unitstride_sbrr_dirReg,@function
fft_rtc_fwd_len1326_factors_17_6_13_wgs_204_tpt_102_halfLds_sp_op_CI_CI_unitstride_sbrr_dirReg: ; @fft_rtc_fwd_len1326_factors_17_6_13_wgs_204_tpt_102_halfLds_sp_op_CI_CI_unitstride_sbrr_dirReg
; %bb.0:
	s_load_dwordx4 s[8:11], s[4:5], 0x58
	s_load_dwordx4 s[12:15], s[4:5], 0x0
	;; [unrolled: 1-line block ×3, first 2 shown]
	v_mul_u32_u24_e32 v1, 0x283, v0
	v_lshrrev_b32_e32 v45, 16, v1
	v_mov_b32_e32 v3, 0
	s_waitcnt lgkmcnt(0)
	v_cmp_lt_u64_e64 s[0:1], s[14:15], 2
	v_mov_b32_e32 v11, 0
	v_lshl_add_u32 v6, s6, 1, v45
	v_mov_b32_e32 v7, v3
	s_and_b64 vcc, exec, s[0:1]
	v_mov_b32_e32 v12, 0
	s_cbranch_vccnz .LBB0_8
; %bb.1:
	s_load_dwordx2 s[0:1], s[4:5], 0x10
	s_add_u32 s2, s18, 8
	s_addc_u32 s3, s19, 0
	s_add_u32 s6, s16, 8
	s_addc_u32 s7, s17, 0
	v_mov_b32_e32 v11, 0
	s_waitcnt lgkmcnt(0)
	s_add_u32 s20, s0, 8
	v_mov_b32_e32 v12, 0
	v_mov_b32_e32 v1, v11
	s_addc_u32 s21, s1, 0
	s_mov_b64 s[22:23], 1
	v_mov_b32_e32 v2, v12
.LBB0_2:                                ; =>This Inner Loop Header: Depth=1
	s_load_dwordx2 s[24:25], s[20:21], 0x0
	s_waitcnt lgkmcnt(0)
	v_or_b32_e32 v4, s25, v7
	v_cmp_ne_u64_e32 vcc, 0, v[3:4]
                                        ; implicit-def: $vgpr4_vgpr5
	s_and_saveexec_b64 s[0:1], vcc
	s_xor_b64 s[26:27], exec, s[0:1]
	s_cbranch_execz .LBB0_4
; %bb.3:                                ;   in Loop: Header=BB0_2 Depth=1
	v_cvt_f32_u32_e32 v4, s24
	v_cvt_f32_u32_e32 v5, s25
	s_sub_u32 s0, 0, s24
	s_subb_u32 s1, 0, s25
	v_mac_f32_e32 v4, 0x4f800000, v5
	v_rcp_f32_e32 v4, v4
	v_mul_f32_e32 v4, 0x5f7ffffc, v4
	v_mul_f32_e32 v5, 0x2f800000, v4
	v_trunc_f32_e32 v5, v5
	v_mac_f32_e32 v4, 0xcf800000, v5
	v_cvt_u32_f32_e32 v5, v5
	v_cvt_u32_f32_e32 v4, v4
	v_mul_lo_u32 v8, s0, v5
	v_mul_hi_u32 v9, s0, v4
	v_mul_lo_u32 v13, s1, v4
	v_mul_lo_u32 v10, s0, v4
	v_add_u32_e32 v8, v9, v8
	v_add_u32_e32 v8, v8, v13
	v_mul_hi_u32 v9, v4, v10
	v_mul_lo_u32 v13, v4, v8
	v_mul_hi_u32 v15, v4, v8
	v_mul_hi_u32 v14, v5, v10
	v_mul_lo_u32 v10, v5, v10
	v_mul_hi_u32 v16, v5, v8
	v_add_co_u32_e32 v9, vcc, v9, v13
	v_addc_co_u32_e32 v13, vcc, 0, v15, vcc
	v_mul_lo_u32 v8, v5, v8
	v_add_co_u32_e32 v9, vcc, v9, v10
	v_addc_co_u32_e32 v9, vcc, v13, v14, vcc
	v_addc_co_u32_e32 v10, vcc, 0, v16, vcc
	v_add_co_u32_e32 v8, vcc, v9, v8
	v_addc_co_u32_e32 v9, vcc, 0, v10, vcc
	v_add_co_u32_e32 v4, vcc, v4, v8
	v_addc_co_u32_e32 v5, vcc, v5, v9, vcc
	v_mul_lo_u32 v8, s0, v5
	v_mul_hi_u32 v9, s0, v4
	v_mul_lo_u32 v10, s1, v4
	v_mul_lo_u32 v13, s0, v4
	v_add_u32_e32 v8, v9, v8
	v_add_u32_e32 v8, v8, v10
	v_mul_lo_u32 v14, v4, v8
	v_mul_hi_u32 v15, v4, v13
	v_mul_hi_u32 v16, v4, v8
	;; [unrolled: 1-line block ×3, first 2 shown]
	v_mul_lo_u32 v13, v5, v13
	v_mul_hi_u32 v9, v5, v8
	v_add_co_u32_e32 v14, vcc, v15, v14
	v_addc_co_u32_e32 v15, vcc, 0, v16, vcc
	v_mul_lo_u32 v8, v5, v8
	v_add_co_u32_e32 v13, vcc, v14, v13
	v_addc_co_u32_e32 v10, vcc, v15, v10, vcc
	v_addc_co_u32_e32 v9, vcc, 0, v9, vcc
	v_add_co_u32_e32 v8, vcc, v10, v8
	v_addc_co_u32_e32 v9, vcc, 0, v9, vcc
	v_add_co_u32_e32 v8, vcc, v4, v8
	v_addc_co_u32_e32 v9, vcc, v5, v9, vcc
	v_mad_u64_u32 v[4:5], s[0:1], v6, v9, 0
	v_mul_hi_u32 v10, v6, v8
	v_add_co_u32_e32 v10, vcc, v10, v4
	v_addc_co_u32_e32 v13, vcc, 0, v5, vcc
	v_mad_u64_u32 v[4:5], s[0:1], v7, v8, 0
	v_mad_u64_u32 v[8:9], s[0:1], v7, v9, 0
	v_add_co_u32_e32 v4, vcc, v10, v4
	v_addc_co_u32_e32 v4, vcc, v13, v5, vcc
	v_addc_co_u32_e32 v5, vcc, 0, v9, vcc
	v_add_co_u32_e32 v8, vcc, v4, v8
	v_addc_co_u32_e32 v9, vcc, 0, v5, vcc
	v_mul_lo_u32 v10, s25, v8
	v_mul_lo_u32 v13, s24, v9
	v_mad_u64_u32 v[4:5], s[0:1], s24, v8, 0
	v_add3_u32 v5, v5, v13, v10
	v_sub_u32_e32 v10, v7, v5
	v_mov_b32_e32 v13, s25
	v_sub_co_u32_e32 v4, vcc, v6, v4
	v_subb_co_u32_e64 v10, s[0:1], v10, v13, vcc
	v_subrev_co_u32_e64 v13, s[0:1], s24, v4
	v_subbrev_co_u32_e64 v10, s[0:1], 0, v10, s[0:1]
	v_cmp_le_u32_e64 s[0:1], s25, v10
	v_cndmask_b32_e64 v14, 0, -1, s[0:1]
	v_cmp_le_u32_e64 s[0:1], s24, v13
	v_cndmask_b32_e64 v13, 0, -1, s[0:1]
	v_cmp_eq_u32_e64 s[0:1], s25, v10
	v_cndmask_b32_e64 v10, v14, v13, s[0:1]
	v_add_co_u32_e64 v13, s[0:1], 2, v8
	v_addc_co_u32_e64 v14, s[0:1], 0, v9, s[0:1]
	v_add_co_u32_e64 v15, s[0:1], 1, v8
	v_addc_co_u32_e64 v16, s[0:1], 0, v9, s[0:1]
	v_subb_co_u32_e32 v5, vcc, v7, v5, vcc
	v_cmp_ne_u32_e64 s[0:1], 0, v10
	v_cmp_le_u32_e32 vcc, s25, v5
	v_cndmask_b32_e64 v10, v16, v14, s[0:1]
	v_cndmask_b32_e64 v14, 0, -1, vcc
	v_cmp_le_u32_e32 vcc, s24, v4
	v_cndmask_b32_e64 v4, 0, -1, vcc
	v_cmp_eq_u32_e32 vcc, s25, v5
	v_cndmask_b32_e32 v4, v14, v4, vcc
	v_cmp_ne_u32_e32 vcc, 0, v4
	v_cndmask_b32_e64 v4, v15, v13, s[0:1]
	v_cndmask_b32_e32 v5, v9, v10, vcc
	v_cndmask_b32_e32 v4, v8, v4, vcc
.LBB0_4:                                ;   in Loop: Header=BB0_2 Depth=1
	s_andn2_saveexec_b64 s[0:1], s[26:27]
	s_cbranch_execz .LBB0_6
; %bb.5:                                ;   in Loop: Header=BB0_2 Depth=1
	v_cvt_f32_u32_e32 v4, s24
	s_sub_i32 s26, 0, s24
	v_rcp_iflag_f32_e32 v4, v4
	v_mul_f32_e32 v4, 0x4f7ffffe, v4
	v_cvt_u32_f32_e32 v4, v4
	v_mul_lo_u32 v5, s26, v4
	v_mul_hi_u32 v5, v4, v5
	v_add_u32_e32 v4, v4, v5
	v_mul_hi_u32 v4, v6, v4
	v_mul_lo_u32 v5, v4, s24
	v_add_u32_e32 v8, 1, v4
	v_sub_u32_e32 v5, v6, v5
	v_subrev_u32_e32 v9, s24, v5
	v_cmp_le_u32_e32 vcc, s24, v5
	v_cndmask_b32_e32 v5, v5, v9, vcc
	v_cndmask_b32_e32 v4, v4, v8, vcc
	v_add_u32_e32 v8, 1, v4
	v_cmp_le_u32_e32 vcc, s24, v5
	v_cndmask_b32_e32 v4, v4, v8, vcc
	v_mov_b32_e32 v5, v3
.LBB0_6:                                ;   in Loop: Header=BB0_2 Depth=1
	s_or_b64 exec, exec, s[0:1]
	v_mul_lo_u32 v10, v5, s24
	v_mul_lo_u32 v13, v4, s25
	v_mad_u64_u32 v[8:9], s[0:1], v4, s24, 0
	s_load_dwordx2 s[0:1], s[6:7], 0x0
	s_load_dwordx2 s[24:25], s[2:3], 0x0
	v_add3_u32 v9, v9, v13, v10
	v_sub_co_u32_e32 v6, vcc, v6, v8
	v_subb_co_u32_e32 v7, vcc, v7, v9, vcc
	s_waitcnt lgkmcnt(0)
	v_mul_lo_u32 v8, s0, v7
	v_mul_lo_u32 v9, s1, v6
	v_mad_u64_u32 v[11:12], s[0:1], s0, v6, v[11:12]
	v_mul_lo_u32 v7, s24, v7
	v_mul_lo_u32 v10, s25, v6
	v_mad_u64_u32 v[1:2], s[0:1], s24, v6, v[1:2]
	s_add_u32 s22, s22, 1
	s_addc_u32 s23, s23, 0
	s_add_u32 s2, s2, 8
	v_add3_u32 v2, v10, v2, v7
	s_addc_u32 s3, s3, 0
	v_mov_b32_e32 v6, s14
	s_add_u32 s6, s6, 8
	v_mov_b32_e32 v7, s15
	s_addc_u32 s7, s7, 0
	v_cmp_ge_u64_e32 vcc, s[22:23], v[6:7]
	s_add_u32 s20, s20, 8
	v_add3_u32 v12, v9, v12, v8
	s_addc_u32 s21, s21, 0
	s_cbranch_vccnz .LBB0_9
; %bb.7:                                ;   in Loop: Header=BB0_2 Depth=1
	v_mov_b32_e32 v7, v5
	v_mov_b32_e32 v6, v4
	s_branch .LBB0_2
.LBB0_8:
	v_mov_b32_e32 v1, v11
	v_mov_b32_e32 v4, v6
	;; [unrolled: 1-line block ×4, first 2 shown]
.LBB0_9:
	s_lshl_b64 s[14:15], s[14:15], 3
	s_load_dwordx2 s[0:1], s[4:5], 0x28
	s_add_u32 s2, s18, s14
	s_mov_b32 s3, 0x2828283
	v_mul_hi_u32 v3, v0, s3
	s_addc_u32 s3, s19, s15
	s_load_dwordx2 s[4:5], s[2:3], 0x0
	s_waitcnt lgkmcnt(0)
	v_cmp_gt_u64_e64 s[0:1], s[0:1], v[4:5]
	v_mul_u32_u24_e32 v3, 0x66, v3
	v_sub_u32_e32 v6, v0, v3
	v_mov_b32_e32 v10, 0
	v_mov_b32_e32 v3, 0
	;; [unrolled: 1-line block ×3, first 2 shown]
                                        ; implicit-def: $vgpr20
                                        ; implicit-def: $vgpr28
                                        ; implicit-def: $vgpr22
                                        ; implicit-def: $vgpr44
                                        ; implicit-def: $vgpr42
                                        ; implicit-def: $vgpr40
                                        ; implicit-def: $vgpr38
                                        ; implicit-def: $vgpr36
                                        ; implicit-def: $vgpr32
                                        ; implicit-def: $vgpr26
                                        ; implicit-def: $vgpr18
                                        ; implicit-def: $vgpr14
                                        ; implicit-def: $vgpr16
                                        ; implicit-def: $vgpr24
                                        ; implicit-def: $vgpr30
                                        ; implicit-def: $vgpr34
	s_and_saveexec_b64 s[2:3], s[0:1]
	s_cbranch_execz .LBB0_13
; %bb.10:
	s_movk_i32 s6, 0x4e
	v_cmp_gt_u32_e32 vcc, s6, v6
	v_mov_b32_e32 v9, 0
	v_mov_b32_e32 v10, 0
                                        ; implicit-def: $vgpr33
                                        ; implicit-def: $vgpr29
                                        ; implicit-def: $vgpr23
                                        ; implicit-def: $vgpr15
                                        ; implicit-def: $vgpr13
                                        ; implicit-def: $vgpr17
                                        ; implicit-def: $vgpr25
                                        ; implicit-def: $vgpr31
                                        ; implicit-def: $vgpr35
                                        ; implicit-def: $vgpr37
                                        ; implicit-def: $vgpr39
                                        ; implicit-def: $vgpr41
                                        ; implicit-def: $vgpr43
                                        ; implicit-def: $vgpr21
                                        ; implicit-def: $vgpr27
                                        ; implicit-def: $vgpr19
	s_and_saveexec_b64 s[6:7], vcc
	s_cbranch_execz .LBB0_12
; %bb.11:
	s_add_u32 s14, s16, s14
	s_addc_u32 s15, s17, s15
	s_load_dwordx2 s[14:15], s[14:15], 0x0
	v_mov_b32_e32 v10, s9
	v_mov_b32_e32 v7, 0
	s_waitcnt lgkmcnt(0)
	v_mul_lo_u32 v0, s15, v4
	v_mul_lo_u32 v3, s14, v5
	v_mad_u64_u32 v[8:9], s[14:15], s14, v4, 0
	v_add3_u32 v9, v9, v3, v0
	v_lshlrev_b64 v[8:9], 3, v[8:9]
	v_add_co_u32_e32 v0, vcc, s8, v8
	v_addc_co_u32_e32 v3, vcc, v10, v9, vcc
	v_lshlrev_b64 v[8:9], 3, v[11:12]
	s_movk_i32 s8, 0x1000
	v_add_co_u32_e32 v0, vcc, v0, v8
	v_lshlrev_b64 v[7:8], 3, v[6:7]
	v_addc_co_u32_e32 v3, vcc, v3, v9, vcc
	v_add_co_u32_e32 v7, vcc, v0, v7
	v_addc_co_u32_e32 v8, vcc, v3, v8, vcc
	v_add_co_u32_e32 v11, vcc, s8, v7
	;; [unrolled: 2-line block ×3, first 2 shown]
	global_load_dwordx2 v[9:10], v[7:8], off
	global_load_dwordx2 v[19:20], v[7:8], off offset:624
	global_load_dwordx2 v[27:28], v[7:8], off offset:1248
	;; [unrolled: 1-line block ×3, first 2 shown]
	v_addc_co_u32_e32 v47, vcc, 0, v8, vcc
	global_load_dwordx2 v[43:44], v[7:8], off offset:2496
	global_load_dwordx2 v[41:42], v[7:8], off offset:3120
	;; [unrolled: 1-line block ×13, first 2 shown]
.LBB0_12:
	s_or_b64 exec, exec, s[6:7]
	v_mov_b32_e32 v3, v6
.LBB0_13:
	s_or_b64 exec, exec, s[2:3]
	s_waitcnt vmcnt(0)
	v_add_f32_e32 v53, v19, v31
	v_mul_f32_e32 v46, 0x3f3d2fb0, v53
	v_add_f32_e32 v56, v27, v25
	v_sub_f32_e32 v59, v20, v32
	v_mov_b32_e32 v0, v46
	v_mul_f32_e32 v47, 0x3dbcf732, v56
	v_fmac_f32_e32 v0, 0xbf2c7751, v59
	v_sub_f32_e32 v63, v28, v26
	v_mov_b32_e32 v7, v47
	v_add_f32_e32 v0, v9, v0
	v_fmac_f32_e32 v7, 0xbf7ee86f, v63
	v_mul_f32_e32 v48, 0x3ee437d1, v53
	v_add_f32_e32 v0, v0, v7
	v_mov_b32_e32 v7, v48
	v_mul_f32_e32 v49, 0xbf1a4643, v56
	v_fmac_f32_e32 v7, 0xbf65296c, v59
	v_mov_b32_e32 v8, v49
	v_add_f32_e32 v62, v21, v17
	v_add_f32_e32 v7, v9, v7
	v_fmac_f32_e32 v8, 0xbf4c4adb, v63
	v_mul_f32_e32 v50, 0xbf1a4643, v62
	v_add_f32_e32 v7, v7, v8
	v_sub_f32_e32 v64, v22, v18
	v_mov_b32_e32 v8, v50
	v_fmac_f32_e32 v8, 0xbf4c4adb, v64
	v_mul_f32_e32 v51, 0xbf7ba420, v62
	v_add_f32_e32 v0, v0, v8
	v_mov_b32_e32 v8, v51
	v_add_f32_e32 v65, v43, v13
	v_fmac_f32_e32 v8, 0x3e3c28d5, v64
	v_mul_f32_e32 v52, 0xbf7ba420, v65
	v_add_f32_e32 v7, v7, v8
	v_sub_f32_e32 v68, v44, v14
	v_mov_b32_e32 v8, v52
	v_fmac_f32_e32 v8, 0xbe3c28d5, v68
	v_mul_f32_e32 v54, 0xbe8c1d8e, v65
	v_add_f32_e32 v0, v0, v8
	v_mov_b32_e32 v8, v54
	;; [unrolled: 10-line block ×6, first 2 shown]
	v_fmac_f32_e32 v0, 0xbf06c442, v76
	v_mul_f32_e32 v77, 0x3dbcf732, v53
	v_add_f32_e32 v11, v7, v0
	v_mov_b32_e32 v0, v77
	v_mul_f32_e32 v78, 0xbf7ba420, v56
	v_fmac_f32_e32 v0, 0xbf7ee86f, v59
	v_mov_b32_e32 v7, v78
	v_add_f32_e32 v0, v9, v0
	v_fmac_f32_e32 v7, 0xbe3c28d5, v63
	v_mul_f32_e32 v91, 0xbe8c1d8e, v53
	v_add_f32_e32 v0, v0, v7
	v_mov_b32_e32 v7, v91
	v_mul_f32_e32 v92, 0xbf59a7d5, v56
	v_fmac_f32_e32 v7, 0xbf763a35, v59
	v_mov_b32_e32 v8, v92
	v_add_f32_e32 v7, v9, v7
	v_fmac_f32_e32 v8, 0x3f06c442, v63
	v_mul_f32_e32 v79, 0xbe8c1d8e, v62
	v_add_f32_e32 v7, v7, v8
	v_mov_b32_e32 v8, v79
	v_fmac_f32_e32 v8, 0x3f763a35, v64
	v_mul_f32_e32 v93, 0x3f3d2fb0, v62
	v_add_f32_e32 v0, v0, v8
	v_mov_b32_e32 v8, v93
	;; [unrolled: 4-line block ×13, first 2 shown]
	v_mul_f32_e32 v82, 0x3f3d2fb0, v56
	v_fmac_f32_e32 v0, 0xbeb8f4ab, v59
	v_mov_b32_e32 v84, v82
	v_add_f32_e32 v0, v9, v0
	v_fmac_f32_e32 v84, 0xbf2c7751, v63
	v_add_f32_e32 v0, v0, v84
	v_mul_f32_e32 v84, 0x3ee437d1, v62
	v_mov_b32_e32 v85, v84
	v_fmac_f32_e32 v85, 0xbf65296c, v64
	v_add_f32_e32 v0, v0, v85
	v_mul_f32_e32 v85, 0x3dbcf732, v65
	v_mov_b32_e32 v86, v85
	;; [unrolled: 4-line block ×5, first 2 shown]
	v_fmac_f32_e32 v96, 0xbf06c442, v74
	v_and_b32_e32 v45, 1, v45
	v_add_f32_e32 v0, v0, v96
	v_mov_b32_e32 v96, 0x52e
	v_cmp_eq_u32_e32 vcc, 1, v45
	v_cndmask_b32_e32 v102, 0, v96, vcc
	v_mul_f32_e32 v96, 0xbf7ba420, v80
	v_mov_b32_e32 v45, v96
	v_fmac_f32_e32 v45, 0xbe3c28d5, v76
	s_movk_i32 s2, 0x4e
	s_mov_b32 s16, 0x3f6eb680
	s_mov_b32 s9, 0x3f3d2fb0
	;; [unrolled: 1-line block ×8, first 2 shown]
	v_add_f32_e32 v45, v0, v45
	v_cmp_gt_u32_e64 s[2:3], s2, v6
	v_lshlrev_b32_e32 v0, 2, v102
	s_and_saveexec_b64 s[6:7], s[2:3]
	s_cbranch_execz .LBB0_15
; %bb.14:
	v_mul_f32_e32 v115, 0xbe3c28d5, v59
	v_mov_b32_e32 v116, v115
	v_mul_f32_e32 v117, 0x3eb8f4ab, v63
	v_fmac_f32_e32 v116, 0xbf7ba420, v53
	v_mov_b32_e32 v118, v117
	v_add_f32_e32 v116, v9, v116
	v_fmac_f32_e32 v118, 0x3f6eb680, v56
	v_add_f32_e32 v116, v116, v118
	v_mul_f32_e32 v118, 0xbf06c442, v64
	v_mov_b32_e32 v119, v118
	v_fmac_f32_e32 v119, 0xbf59a7d5, v62
	v_add_f32_e32 v116, v116, v119
	v_mul_f32_e32 v119, 0x3f2c7751, v68
	v_mov_b32_e32 v120, v119
	;; [unrolled: 4-line block ×3, first 2 shown]
	v_fmac_f32_e32 v121, 0xbf1a4643, v70
	v_add_f32_e32 v116, v116, v121
	v_mul_f32_e32 v121, 0x3f65296c, v72
	v_fma_f32 v115, v53, s14, -v115
	v_mov_b32_e32 v122, v121
	v_add_f32_e32 v115, v9, v115
	v_fma_f32 v117, v56, s16, -v117
	v_fmac_f32_e32 v122, 0x3ee437d1, v73
	v_add_f32_e32 v115, v115, v117
	v_fma_f32 v117, v62, s17, -v118
	v_add_f32_e32 v116, v116, v122
	v_mul_f32_e32 v122, 0xbf763a35, v74
	v_add_f32_e32 v115, v115, v117
	v_fma_f32 v117, v65, s9, -v119
	v_mov_b32_e32 v123, v122
	v_add_f32_e32 v115, v115, v117
	v_fma_f32 v117, v70, s19, -v120
	v_fmac_f32_e32 v123, 0xbe8c1d8e, v75
	v_add_f32_e32 v115, v115, v117
	v_fma_f32 v117, v73, s8, -v121
	v_add_f32_e32 v116, v116, v123
	v_mul_f32_e32 v123, 0x3f7ee86f, v76
	v_add_f32_e32 v115, v115, v117
	v_fma_f32 v117, v75, s18, -v122
	v_add_f32_e32 v115, v115, v117
	v_fma_f32 v117, v80, s15, -v123
	v_add_f32_e32 v115, v115, v117
	v_mul_f32_e32 v117, 0xbf06c442, v59
	v_mov_b32_e32 v118, v117
	v_mul_f32_e32 v119, 0x3f65296c, v63
	v_fmac_f32_e32 v118, 0xbf59a7d5, v53
	v_mov_b32_e32 v120, v119
	v_add_f32_e32 v118, v9, v118
	v_fmac_f32_e32 v120, 0x3ee437d1, v56
	v_add_f32_e32 v118, v118, v120
	v_mul_f32_e32 v120, 0xbf7ee86f, v64
	v_mov_b32_e32 v121, v120
	v_fmac_f32_e32 v121, 0x3dbcf732, v62
	v_add_f32_e32 v118, v118, v121
	v_mul_f32_e32 v121, 0x3f4c4adb, v68
	v_mov_b32_e32 v122, v121
	;; [unrolled: 4-line block ×3, first 2 shown]
	v_mov_b32_e32 v123, v122
	v_fmac_f32_e32 v123, 0x3f6eb680, v70
	v_fmac_f32_e32 v124, 0x3dbcf732, v80
	v_add_f32_e32 v118, v118, v123
	v_mul_f32_e32 v123, 0xbe3c28d5, v72
	v_fma_f32 v117, v53, s17, -v117
	v_add_f32_e32 v116, v116, v124
	v_mov_b32_e32 v124, v123
	v_add_f32_e32 v117, v9, v117
	v_fma_f32 v119, v56, s8, -v119
	v_fmac_f32_e32 v124, 0xbf7ba420, v73
	v_add_f32_e32 v117, v117, v119
	v_fma_f32 v119, v62, s15, -v120
	v_add_f32_e32 v118, v118, v124
	v_mul_f32_e32 v124, 0x3f2c7751, v74
	v_add_f32_e32 v117, v117, v119
	v_fma_f32 v119, v65, s19, -v121
	v_mov_b32_e32 v125, v124
	v_add_f32_e32 v117, v117, v119
	v_fma_f32 v119, v70, s16, -v122
	v_fmac_f32_e32 v125, 0x3f3d2fb0, v75
	v_add_f32_e32 v117, v117, v119
	v_fma_f32 v119, v73, s14, -v123
	v_add_f32_e32 v118, v118, v125
	v_mul_f32_e32 v125, 0xbf763a35, v76
	v_add_f32_e32 v117, v117, v119
	v_fma_f32 v119, v75, s9, -v124
	v_mul_f32_e32 v102, 0xbeb8f4ab, v59
	v_mul_f32_e32 v103, 0xbf2c7751, v59
	v_mul_f32_e32 v104, 0xbf65296c, v59
	v_mul_f32_e32 v105, 0xbf7ee86f, v59
	v_mul_f32_e32 v106, 0xbf763a35, v59
	v_add_f32_e32 v117, v117, v119
	v_fma_f32 v119, v80, s18, -v125
	v_mul_f32_e32 v59, 0xbf4c4adb, v59
	v_mul_f32_e32 v107, 0xbf2c7751, v63
	;; [unrolled: 1-line block ×6, first 2 shown]
	v_add_f32_e32 v117, v117, v119
	v_mov_b32_e32 v119, v59
	v_mul_f32_e32 v63, 0x3f763a35, v63
	v_fmac_f32_e32 v119, 0xbf1a4643, v53
	v_mov_b32_e32 v120, v63
	v_add_f32_e32 v119, v9, v119
	v_fmac_f32_e32 v120, 0xbe8c1d8e, v56
	v_add_f32_e32 v119, v119, v120
	v_mul_f32_e32 v120, 0xbeb8f4ab, v64
	v_mov_b32_e32 v121, v120
	v_fmac_f32_e32 v121, 0x3f6eb680, v62
	v_add_f32_e32 v119, v119, v121
	v_mul_f32_e32 v121, 0xbf06c442, v68
	v_mov_b32_e32 v122, v121
	;; [unrolled: 4-line block ×5, first 2 shown]
	v_mov_b32_e32 v125, v124
	v_fmac_f32_e32 v125, 0xbf7ba420, v75
	v_fma_f32 v53, v53, s19, -v59
	v_fmac_f32_e32 v126, 0xbe8c1d8e, v80
	v_add_f32_e32 v119, v119, v125
	v_mul_f32_e32 v125, 0x3f65296c, v76
	v_fma_f32 v56, v56, s18, -v63
	v_add_f32_e32 v53, v9, v53
	v_add_f32_e32 v118, v118, v126
	v_mov_b32_e32 v126, v125
	v_add_f32_e32 v53, v53, v56
	v_fma_f32 v62, v62, s16, -v120
	v_fmac_f32_e32 v126, 0x3ee437d1, v80
	v_add_f32_e32 v53, v53, v62
	v_fma_f32 v65, v65, s17, -v121
	v_sub_f32_e32 v91, v91, v106
	v_sub_f32_e32 v46, v46, v103
	v_mul_f32_e32 v112, 0xbf65296c, v64
	v_mul_f32_e32 v113, 0xbf4c4adb, v64
	;; [unrolled: 1-line block ×3, first 2 shown]
	v_add_f32_e32 v119, v119, v126
	v_mul_f32_e32 v126, 0x3f763a35, v64
	v_mul_f32_e32 v64, 0x3f2c7751, v64
	v_add_f32_e32 v53, v53, v65
	v_fma_f32 v70, v70, s15, -v122
	v_sub_f32_e32 v92, v92, v111
	v_add_f32_e32 v91, v9, v91
	v_add_f32_e32 v46, v9, v46
	v_sub_f32_e32 v47, v47, v108
	v_mul_f32_e32 v59, 0xbf7ee86f, v68
	v_mul_f32_e32 v63, 0xbe3c28d5, v68
	v_mul_f32_e32 v56, 0x3f763a35, v68
	v_mul_f32_e32 v120, 0x3eb8f4ab, v68
	v_mul_f32_e32 v68, 0xbf65296c, v68
	v_add_f32_e32 v53, v53, v70
	v_fma_f32 v73, v73, s9, -v123
	v_add_f32_e32 v91, v91, v92
	v_sub_f32_e32 v64, v93, v64
	v_add_f32_e32 v46, v46, v47
	v_sub_f32_e32 v47, v50, v113
	v_mul_f32_e32 v62, 0xbf763a35, v69
	v_mul_f32_e32 v121, 0x3f06c442, v69
	v_mul_f32_e32 v65, 0x3f2c7751, v69
	v_mul_f32_e32 v122, 0xbf65296c, v69
	v_mul_f32_e32 v69, 0xbe3c28d5, v69
	v_add_f32_e32 v53, v53, v73
	v_fma_f32 v75, v75, s14, -v124
	v_add_f32_e32 v64, v91, v64
	v_sub_f32_e32 v68, v95, v68
	;; [unrolled: 11-line block ×3, first 2 shown]
	v_add_f32_e32 v46, v46, v47
	v_sub_f32_e32 v47, v55, v121
	v_mul_f32_e32 v75, 0xbf06c442, v74
	v_mul_f32_e32 v125, 0x3f65296c, v74
	v_add_f32_e32 v53, v53, v80
	v_mul_f32_e32 v80, 0xbf7ee86f, v74
	v_mul_f32_e32 v106, 0x3f4c4adb, v74
	;; [unrolled: 1-line block ×3, first 2 shown]
	v_add_f32_e32 v64, v64, v68
	v_sub_f32_e32 v68, v99, v72
	v_add_f32_e32 v46, v46, v47
	v_sub_f32_e32 v47, v58, v123
	v_mul_f32_e32 v111, 0xbe3c28d5, v76
	v_mul_f32_e32 v92, 0x3eb8f4ab, v76
	;; [unrolled: 1-line block ×5, first 2 shown]
	v_add_f32_e32 v64, v64, v68
	v_sub_f32_e32 v68, v100, v74
	v_add_f32_e32 v46, v46, v47
	v_sub_f32_e32 v47, v61, v125
	;; [unrolled: 2-line block ×5, first 2 shown]
	v_sub_f32_e32 v48, v48, v104
	v_add_f32_e32 v46, v46, v47
	v_sub_f32_e32 v47, v81, v102
	v_add_f32_e32 v68, v9, v68
	v_add_f32_e32 v48, v9, v48
	v_sub_f32_e32 v49, v49, v109
	v_add_f32_e32 v47, v9, v47
	v_add_f32_e32 v9, v9, v19
	;; [unrolled: 1-line block ×3, first 2 shown]
	v_sub_f32_e32 v49, v51, v114
	v_add_f32_e32 v9, v9, v27
	v_add_f32_e32 v48, v48, v49
	v_sub_f32_e32 v49, v54, v56
	v_add_f32_e32 v9, v9, v21
	v_add_f32_e32 v48, v48, v49
	v_sub_f32_e32 v49, v57, v65
	v_add_f32_e32 v9, v9, v43
	v_add_f32_e32 v48, v48, v49
	v_sub_f32_e32 v49, v60, v73
	v_add_f32_e32 v9, v9, v41
	v_add_f32_e32 v48, v48, v49
	v_sub_f32_e32 v49, v66, v80
	v_add_f32_e32 v9, v9, v39
	v_add_f32_e32 v48, v48, v49
	v_sub_f32_e32 v49, v71, v93
	v_add_f32_e32 v9, v9, v37
	v_add_f32_e32 v48, v48, v49
	v_sub_f32_e32 v49, v82, v107
	v_add_f32_e32 v9, v9, v35
	v_add_f32_e32 v47, v47, v49
	v_sub_f32_e32 v49, v84, v112
	v_add_f32_e32 v9, v9, v33
	v_sub_f32_e32 v69, v78, v110
	v_add_f32_e32 v47, v47, v49
	;; [unrolled: 2-line block ×3, first 2 shown]
	v_add_f32_e32 v68, v68, v69
	v_sub_f32_e32 v69, v79, v126
	v_add_f32_e32 v47, v47, v49
	v_sub_f32_e32 v49, v86, v62
	v_add_f32_e32 v9, v23, v9
	v_add_f32_e32 v68, v68, v69
	v_sub_f32_e32 v69, v83, v120
	v_add_f32_e32 v47, v47, v49
	v_sub_f32_e32 v49, v88, v70
	v_add_f32_e32 v9, v15, v9
	;; [unrolled: 5-line block ×4, first 2 shown]
	v_add_f32_e32 v68, v68, v69
	v_sub_f32_e32 v69, v94, v106
	v_add_f32_e32 v47, v47, v49
	v_add_f32_e32 v9, v25, v9
	v_mul_u32_u24_e32 v49, 0x44, v6
	v_add_f32_e32 v68, v68, v69
	v_sub_f32_e32 v69, v97, v91
	v_add_f32_e32 v9, v31, v9
	v_add3_u32 v49, 0, v49, v0
	v_add_f32_e32 v68, v68, v69
	ds_write2_b32 v49, v9, v47 offset1:1
	ds_write2_b32 v49, v46, v48 offset0:2 offset1:3
	ds_write2_b32 v49, v68, v64 offset0:4 offset1:5
	;; [unrolled: 1-line block ×7, first 2 shown]
	ds_write_b32 v49, v45 offset:64
.LBB0_15:
	s_or_b64 exec, exec, s[6:7]
	v_lshlrev_b32_e32 v9, 2, v6
	v_add_u32_e32 v65, 0, v9
	v_add_u32_e32 v61, v65, v0
	v_add3_u32 v62, 0, v0, v9
	v_add_u32_e32 v9, 0x400, v61
	s_waitcnt lgkmcnt(0)
	s_barrier
	ds_read2_b32 v[51:52], v9 offset0:67 offset1:186
	v_add_u32_e32 v9, 0x800, v61
	ds_read2_b32 v[53:54], v9 offset0:32 offset1:151
	v_add_u32_e32 v9, 0xa00, v61
	v_add_u32_e32 v46, 0xe00, v61
	ds_read2_b32 v[47:48], v61 offset0:102 offset1:221
	ds_read2_b32 v[55:56], v9 offset0:125 offset1:244
	;; [unrolled: 1-line block ×3, first 2 shown]
	ds_read_b32 v63, v62
	ds_read_b32 v64, v61 offset:4828
	v_cmp_gt_u32_e32 vcc, 17, v6
	s_and_saveexec_b64 s[6:7], vcc
	s_cbranch_execz .LBB0_17
; %bb.16:
	v_add_u32_e32 v7, 0x300, v61
	ds_read2_b32 v[7:8], v7 offset0:12 offset1:233
	ds_read2_b32 v[11:12], v9 offset0:6 offset1:227
	v_add_u32_e32 v9, 0x1100, v61
	ds_read2_b32 v[45:46], v9 offset1:221
.LBB0_17:
	s_or_b64 exec, exec, s[6:7]
	v_sub_f32_e32 v88, v19, v31
	v_add_f32_e32 v85, v20, v32
	s_mov_b32 s17, 0x3f6eb680
	v_mul_f32_e32 v101, 0xbeb8f4ab, v88
	v_sub_f32_e32 v84, v27, v25
	v_fma_f32 v9, v85, s17, -v101
	s_mov_b32 s15, 0x3f3d2fb0
	v_mul_f32_e32 v103, 0xbf2c7751, v88
	v_add_f32_e32 v80, v28, v26
	v_mul_f32_e32 v97, 0xbf2c7751, v84
	v_sub_f32_e32 v77, v21, v17
	v_add_f32_e32 v9, v10, v9
	v_fma_f32 v19, v85, s15, -v103
	s_mov_b32 s9, 0x3ee437d1
	v_mul_f32_e32 v104, 0xbf65296c, v88
	s_mov_b32 s8, 0x3dbcf732
	v_fma_f32 v25, v80, s15, -v97
	v_mul_f32_e32 v98, 0xbf7ee86f, v84
	v_add_f32_e32 v76, v22, v18
	v_mul_f32_e32 v92, 0xbf65296c, v77
	v_sub_f32_e32 v70, v43, v13
	v_add_f32_e32 v19, v10, v19
	v_fma_f32 v31, v85, s9, -v104
	v_mul_f32_e32 v105, 0xbf7ee86f, v88
	v_add_f32_e32 v9, v9, v25
	v_fma_f32 v25, v80, s8, -v98
	s_mov_b32 s18, 0xbf1a4643
	v_mul_f32_e32 v99, 0xbf4c4adb, v84
	v_fma_f32 v17, v76, s9, -v92
	v_mul_f32_e32 v93, 0xbf4c4adb, v77
	v_add_f32_e32 v69, v44, v14
	v_mul_f32_e32 v86, 0xbf7ee86f, v70
	v_sub_f32_e32 v41, v41, v15
	v_add_f32_e32 v31, v10, v31
	v_fma_f32 v49, v85, s8, -v105
	s_mov_b32 s14, 0xbe8c1d8e
	v_mul_f32_e32 v106, 0xbf763a35, v88
	v_add_f32_e32 v19, v19, v25
	v_fma_f32 v25, v80, s18, -v99
	s_mov_b32 s16, 0xbf7ba420
	v_mul_f32_e32 v100, 0xbe3c28d5, v84
	v_add_f32_e32 v9, v9, v17
	v_fma_f32 v17, v76, s18, -v93
	v_mul_f32_e32 v94, 0x3e3c28d5, v77
	v_fma_f32 v13, v69, s8, -v86
	v_mul_f32_e32 v87, 0xbe3c28d5, v70
	v_add_f32_e32 v43, v42, v16
	v_mul_f32_e32 v78, 0xbf763a35, v41
	v_add_f32_e32 v49, v10, v49
	v_fma_f32 v50, v85, s14, -v106
	v_add_f32_e32 v25, v31, v25
	v_fma_f32 v27, v80, s16, -v100
	s_mov_b32 s19, 0xbf59a7d5
	v_mul_f32_e32 v102, 0x3f06c442, v84
	v_add_f32_e32 v17, v19, v17
	v_fma_f32 v19, v76, s16, -v94
	v_mul_f32_e32 v95, 0x3f763a35, v77
	v_add_f32_e32 v9, v9, v13
	v_fma_f32 v13, v69, s16, -v87
	v_mul_f32_e32 v89, 0x3f763a35, v70
	v_fma_f32 v15, v43, s14, -v78
	v_mul_f32_e32 v79, 0x3f06c442, v41
	v_add_f32_e32 v50, v10, v50
	v_add_f32_e32 v27, v49, v27
	v_fma_f32 v31, v80, s19, -v102
	v_add_f32_e32 v19, v25, v19
	v_fma_f32 v21, v76, s14, -v95
	v_mul_f32_e32 v96, 0x3f2c7751, v77
	v_add_f32_e32 v13, v17, v13
	v_fma_f32 v17, v69, s14, -v89
	v_mul_f32_e32 v90, 0x3eb8f4ab, v70
	;; [unrolled: 3-line block ×3, first 2 shown]
	v_add_f32_e32 v31, v50, v31
	v_add_f32_e32 v21, v27, v21
	v_fma_f32 v25, v76, s15, -v96
	v_add_f32_e32 v17, v19, v17
	v_fma_f32 v19, v69, s17, -v90
	v_mul_f32_e32 v91, 0xbf65296c, v70
	v_add_f32_e32 v13, v13, v15
	v_fma_f32 v15, v43, s15, -v81
	v_mul_f32_e32 v82, 0xbf65296c, v41
	v_add_f32_e32 v25, v31, v25
	v_add_f32_e32 v19, v21, v19
	v_fma_f32 v21, v69, s9, -v91
	v_add_f32_e32 v15, v17, v15
	v_fma_f32 v17, v43, s9, -v82
	v_mul_f32_e32 v83, 0xbe3c28d5, v41
	v_add_f32_e32 v21, v25, v21
	v_add_f32_e32 v17, v19, v17
	v_fma_f32 v19, v43, s16, -v83
	v_sub_f32_e32 v23, v39, v23
	v_add_f32_e32 v19, v21, v19
	v_add_f32_e32 v21, v40, v24
	v_mul_f32_e32 v71, 0xbf4c4adb, v23
	v_fma_f32 v25, v21, s18, -v71
	v_mul_f32_e32 v72, 0x3f763a35, v23
	v_add_f32_e32 v9, v9, v25
	v_fma_f32 v25, v21, s14, -v72
	v_mul_f32_e32 v73, 0xbeb8f4ab, v23
	v_add_f32_e32 v13, v13, v25
	v_fma_f32 v25, v21, s17, -v73
	v_mul_f32_e32 v74, 0xbf06c442, v23
	v_add_f32_e32 v15, v15, v25
	v_fma_f32 v25, v21, s19, -v74
	v_mul_f32_e32 v75, 0x3f7ee86f, v23
	v_add_f32_e32 v25, v17, v25
	v_fma_f32 v17, v21, s8, -v75
	v_add_f32_e32 v27, v19, v17
	v_sub_f32_e32 v19, v37, v29
	v_add_f32_e32 v17, v38, v30
	v_mul_f32_e32 v37, 0xbf06c442, v19
	v_fma_f32 v29, v17, s19, -v37
	v_mul_f32_e32 v39, 0x3f65296c, v19
	v_add_f32_e32 v9, v9, v29
	v_fma_f32 v29, v17, s9, -v39
	v_mul_f32_e32 v66, 0xbf7ee86f, v19
	v_add_f32_e32 v29, v13, v29
	;; [unrolled: 3-line block ×4, first 2 shown]
	v_fma_f32 v13, v17, s17, -v68
	v_sub_f32_e32 v15, v35, v33
	v_add_f32_e32 v107, v27, v13
	v_add_f32_e32 v13, v36, v34
	v_mul_f32_e32 v25, 0xbe3c28d5, v15
	v_fma_f32 v27, v13, s16, -v25
	v_add_f32_e32 v9, v9, v27
	v_mul_f32_e32 v27, 0x3eb8f4ab, v15
	v_fma_f32 v33, v13, s17, -v27
	;; [unrolled: 3-line block ×5, first 2 shown]
	v_add_f32_e32 v49, v107, v35
	s_waitcnt lgkmcnt(0)
	s_barrier
	s_and_saveexec_b64 s[6:7], s[2:3]
	s_cbranch_execz .LBB0_19
; %bb.18:
	v_add_f32_e32 v20, v10, v20
	v_add_f32_e32 v20, v20, v28
	;; [unrolled: 1-line block ×13, first 2 shown]
	v_mul_f32_e32 v35, 0x3f6eb680, v85
	v_mul_f32_e32 v108, 0x3ee437d1, v85
	v_add_f32_e32 v14, v18, v14
	v_mul_f32_e32 v110, 0xbe8c1d8e, v85
	v_add_f32_e32 v14, v26, v14
	v_add_f32_e32 v16, v35, v101
	;; [unrolled: 1-line block ×3, first 2 shown]
	v_mul_f32_e32 v101, 0xbf4c4adb, v88
	v_mul_f32_e32 v104, 0xbf06c442, v88
	;; [unrolled: 1-line block ×5, first 2 shown]
	v_add_f32_e32 v35, v110, v106
	v_mov_b32_e32 v106, v88
	v_mul_f32_e32 v111, 0x3f3d2fb0, v80
	v_add_f32_e32 v14, v32, v14
	v_add_f32_e32 v18, v107, v103
	;; [unrolled: 1-line block ×3, first 2 shown]
	v_fma_f32 v103, v85, s18, -v101
	v_fmac_f32_e32 v101, 0xbf1a4643, v85
	v_fma_f32 v105, v85, s19, -v104
	v_fmac_f32_e32 v104, 0xbf59a7d5, v85
	v_fmac_f32_e32 v106, 0xbf7ba420, v85
	v_fma_f32 v85, v85, s16, -v88
	v_mul_f32_e32 v112, 0x3dbcf732, v80
	v_add_f32_e32 v16, v10, v16
	v_add_f32_e32 v18, v10, v18
	;; [unrolled: 1-line block ×12, first 2 shown]
	v_mul_f32_e32 v113, 0xbf1a4643, v80
	v_add_f32_e32 v16, v16, v85
	v_add_f32_e32 v85, v112, v98
	v_mul_f32_e32 v114, 0xbf7ba420, v80
	v_add_f32_e32 v18, v18, v85
	v_add_f32_e32 v85, v113, v99
	;; [unrolled: 3-line block ×3, first 2 shown]
	v_add_f32_e32 v32, v32, v85
	v_add_f32_e32 v85, v115, v102
	;; [unrolled: 1-line block ×3, first 2 shown]
	v_mul_f32_e32 v85, 0x3f763a35, v84
	v_mul_f32_e32 v97, 0x3f65296c, v84
	;; [unrolled: 1-line block ×3, first 2 shown]
	v_mov_b32_e32 v99, v84
	v_mul_f32_e32 v116, 0x3ee437d1, v76
	v_fma_f32 v88, v80, s14, -v85
	v_fmac_f32_e32 v85, 0xbe8c1d8e, v80
	v_fma_f32 v98, v80, s9, -v97
	v_fmac_f32_e32 v97, 0x3ee437d1, v80
	v_fmac_f32_e32 v99, 0x3f6eb680, v80
	v_fma_f32 v80, v80, s17, -v84
	v_mul_f32_e32 v117, 0xbf1a4643, v76
	v_add_f32_e32 v10, v10, v80
	v_add_f32_e32 v80, v116, v92
	v_mul_f32_e32 v118, 0xbf7ba420, v76
	v_add_f32_e32 v16, v16, v80
	v_add_f32_e32 v80, v117, v93
	;; [unrolled: 3-line block ×4, first 2 shown]
	v_add_f32_e32 v32, v32, v80
	v_add_f32_e32 v80, v120, v96
	;; [unrolled: 1-line block ×3, first 2 shown]
	v_mul_f32_e32 v80, 0xbeb8f4ab, v77
	v_add_f32_e32 v85, v101, v85
	v_fma_f32 v84, v76, s17, -v80
	v_fmac_f32_e32 v80, 0x3f6eb680, v76
	v_add_f32_e32 v80, v85, v80
	v_mul_f32_e32 v85, 0xbf7ee86f, v77
	v_mul_f32_e32 v77, 0xbf06c442, v77
	v_add_f32_e32 v88, v103, v88
	v_mov_b32_e32 v92, v77
	v_mul_f32_e32 v121, 0x3dbcf732, v69
	v_add_f32_e32 v84, v88, v84
	v_fma_f32 v88, v76, s8, -v85
	v_fmac_f32_e32 v85, 0x3dbcf732, v76
	v_fmac_f32_e32 v92, 0xbf59a7d5, v76
	v_fma_f32 v76, v76, s19, -v77
	v_mul_f32_e32 v122, 0xbf7ba420, v69
	v_mul_f32_e32 v22, 0xbe8c1d8e, v43
	v_add_f32_e32 v10, v10, v76
	v_add_f32_e32 v76, v121, v86
	v_mul_f32_e32 v123, 0xbe8c1d8e, v69
	v_mul_f32_e32 v125, 0xbf59a7d5, v43
	v_add_f32_e32 v16, v16, v76
	v_add_f32_e32 v76, v122, v87
	;; [unrolled: 1-line block ×3, first 2 shown]
	v_mul_f32_e32 v28, 0x3f6eb680, v69
	v_mul_f32_e32 v44, 0x3f3d2fb0, v43
	v_add_f32_e32 v18, v18, v76
	v_add_f32_e32 v76, v123, v89
	;; [unrolled: 1-line block ×4, first 2 shown]
	v_mul_f32_e32 v124, 0x3ee437d1, v69
	v_mul_f32_e32 v126, 0x3ee437d1, v43
	v_add_f32_e32 v26, v26, v76
	v_add_f32_e32 v28, v28, v90
	;; [unrolled: 1-line block ×4, first 2 shown]
	v_mul_f32_e32 v42, 0xbf7ba420, v43
	v_add_f32_e32 v28, v32, v28
	v_add_f32_e32 v32, v124, v91
	;; [unrolled: 1-line block ×4, first 2 shown]
	v_mul_f32_e32 v38, 0xbf59a7d5, v21
	v_add_f32_e32 v32, v35, v32
	v_mul_f32_e32 v35, 0xbf06c442, v70
	v_add_f32_e32 v26, v28, v26
	v_add_f32_e32 v28, v42, v83
	v_mul_f32_e32 v40, 0xbe8c1d8e, v21
	v_mul_f32_e32 v129, 0x3dbcf732, v21
	v_fma_f32 v76, v69, s19, -v35
	v_fmac_f32_e32 v35, 0xbf59a7d5, v69
	v_mul_f32_e32 v77, 0x3f4c4adb, v70
	v_mul_f32_e32 v70, 0x3f2c7751, v70
	v_add_f32_e32 v28, v32, v28
	v_mul_f32_e32 v32, 0x3f7ee86f, v41
	v_add_f32_e32 v38, v38, v74
	;; [unrolled: 2-line block ×3, first 2 shown]
	v_add_f32_e32 v76, v84, v76
	v_mov_b32_e32 v84, v70
	v_fma_f32 v42, v43, s8, -v32
	v_fmac_f32_e32 v32, 0x3dbcf732, v43
	v_add_f32_e32 v40, v40, v72
	v_add_f32_e32 v26, v26, v38
	;; [unrolled: 1-line block ×3, first 2 shown]
	v_fma_f32 v80, v69, s18, -v77
	v_fmac_f32_e32 v77, 0xbf1a4643, v69
	v_fmac_f32_e32 v84, 0x3f3d2fb0, v69
	v_fma_f32 v69, v69, s15, -v70
	v_add_f32_e32 v32, v35, v32
	v_add_f32_e32 v35, v76, v42
	v_mul_f32_e32 v42, 0xbeb8f4ab, v41
	v_mul_f32_e32 v41, 0xbf4c4adb, v41
	v_add_f32_e32 v18, v18, v40
	v_add_f32_e32 v40, v128, v73
	;; [unrolled: 1-line block ×3, first 2 shown]
	v_mul_f32_e32 v38, 0xbf2c7751, v23
	v_mul_f32_e32 v127, 0xbf1a4643, v21
	v_add_f32_e32 v10, v10, v69
	v_mov_b32_e32 v69, v41
	v_fma_f32 v41, v43, s18, -v41
	v_add_f32_e32 v22, v22, v40
	v_fma_f32 v40, v21, s15, -v38
	v_fmac_f32_e32 v38, 0x3f3d2fb0, v21
	v_add_f32_e32 v10, v10, v41
	v_add_f32_e32 v41, v127, v71
	;; [unrolled: 1-line block ×3, first 2 shown]
	v_mul_f32_e32 v38, 0xbe3c28d5, v23
	v_mul_f32_e32 v23, 0x3f65296c, v23
	v_add_f32_e32 v16, v16, v41
	v_mov_b32_e32 v41, v23
	v_mul_f32_e32 v36, 0xbf59a7d5, v17
	v_add_f32_e32 v35, v35, v40
	v_fma_f32 v40, v21, s16, -v38
	v_fmac_f32_e32 v38, 0xbf7ba420, v21
	v_fmac_f32_e32 v41, 0x3ee437d1, v21
	v_fma_f32 v21, v21, s9, -v23
	v_mul_f32_e32 v130, 0x3ee437d1, v17
	v_add_f32_e32 v10, v10, v21
	v_add_f32_e32 v21, v36, v37
	v_mul_f32_e32 v34, 0x3dbcf732, v17
	v_add_f32_e32 v16, v16, v21
	v_add_f32_e32 v21, v130, v39
	;; [unrolled: 3-line block ×4, first 2 shown]
	v_add_f32_e32 v22, v26, v22
	v_add_f32_e32 v23, v30, v68
	v_mul_f32_e32 v26, 0xbe3c28d5, v19
	v_mul_f32_e32 v30, 0x3f2c7751, v19
	;; [unrolled: 1-line block ×3, first 2 shown]
	v_add_f32_e32 v23, v28, v23
	v_fma_f32 v28, v17, s16, -v26
	v_fmac_f32_e32 v26, 0xbf7ba420, v17
	v_mov_b32_e32 v34, v19
	v_mul_f32_e32 v132, 0xbf7ba420, v13
	v_add_f32_e32 v26, v32, v26
	v_fma_f32 v32, v17, s15, -v30
	v_fmac_f32_e32 v30, 0x3f3d2fb0, v17
	v_fmac_f32_e32 v34, 0xbe8c1d8e, v17
	v_fma_f32 v17, v17, s14, -v19
	v_mul_f32_e32 v24, 0x3f6eb680, v13
	v_add_f32_e32 v10, v10, v17
	v_add_f32_e32 v17, v132, v25
	v_mul_f32_e32 v133, 0xbf59a7d5, v13
	v_mul_f32_e32 v20, 0x3f3d2fb0, v13
	;; [unrolled: 1-line block ×3, first 2 shown]
	v_add_f32_e32 v16, v16, v17
	v_add_f32_e32 v17, v24, v27
	;; [unrolled: 1-line block ×14, first 2 shown]
	v_mul_f32_e32 v21, 0x3f65296c, v15
	v_mul_f32_e32 v23, 0xbf763a35, v15
	v_mul_f32_e32 v15, 0x3f7ee86f, v15
	v_add_f32_e32 v77, v85, v77
	v_add_f32_e32 v80, v88, v80
	;; [unrolled: 1-line block ×3, first 2 shown]
	v_fma_f32 v44, v43, s17, -v42
	v_fmac_f32_e32 v42, 0x3f6eb680, v43
	v_fmac_f32_e32 v69, 0xbf1a4643, v43
	v_mov_b32_e32 v25, v15
	v_add_f32_e32 v42, v77, v42
	v_add_f32_e32 v44, v80, v44
	v_add_f32_e32 v69, v84, v69
	v_add_f32_e32 v19, v22, v19
	v_fma_f32 v22, v13, s9, -v21
	v_fmac_f32_e32 v21, 0x3ee437d1, v13
	v_fma_f32 v24, v13, s14, -v23
	v_fmac_f32_e32 v23, 0xbe8c1d8e, v13
	v_fmac_f32_e32 v25, 0x3dbcf732, v13
	v_fma_f32 v13, v13, s8, -v15
	v_add_f32_e32 v38, v42, v38
	v_add_f32_e32 v40, v44, v40
	v_add_f32_e32 v41, v69, v41
	v_add_f32_e32 v10, v10, v13
	v_lshlrev_b32_e32 v13, 6, v6
	v_add_f32_e32 v28, v35, v28
	v_add_f32_e32 v30, v38, v30
	;; [unrolled: 1-line block ×4, first 2 shown]
	v_add3_u32 v13, v65, v13, v0
	v_add_f32_e32 v21, v26, v21
	v_add_f32_e32 v22, v28, v22
	;; [unrolled: 1-line block ×5, first 2 shown]
	ds_write2_b32 v13, v14, v16 offset1:1
	ds_write2_b32 v13, v17, v18 offset0:2 offset1:3
	ds_write2_b32 v13, v19, v20 offset0:4 offset1:5
	;; [unrolled: 1-line block ×7, first 2 shown]
	ds_write_b32 v13, v9 offset:64
.LBB0_19:
	s_or_b64 exec, exec, s[6:7]
	v_add_u32_e32 v10, 0x400, v61
	s_waitcnt lgkmcnt(0)
	s_barrier
	ds_read2_b32 v[15:16], v10 offset0:67 offset1:186
	v_add_u32_e32 v10, 0x800, v61
	ds_read2_b32 v[17:18], v10 offset0:32 offset1:151
	v_add_u32_e32 v10, 0xa00, v61
	v_add_u32_e32 v21, 0xe00, v61
	ds_read2_b32 v[13:14], v61 offset0:102 offset1:221
	ds_read2_b32 v[19:20], v10 offset0:125 offset1:244
	;; [unrolled: 1-line block ×3, first 2 shown]
	ds_read_b32 v23, v62
	ds_read_b32 v39, v61 offset:4828
	s_and_saveexec_b64 s[2:3], vcc
	s_cbranch_execz .LBB0_21
; %bb.20:
	v_add_u32_e32 v9, 0x300, v61
	ds_read2_b32 v[49:50], v9 offset0:12 offset1:233
	ds_read2_b32 v[59:60], v10 offset0:6 offset1:227
	v_add_u32_e32 v9, 0x1100, v61
	ds_read2_b32 v[9:10], v9 offset1:221
.LBB0_21:
	s_or_b64 exec, exec, s[2:3]
	s_movk_i32 s2, 0xf1
	v_add_u16_e32 v27, 0x66, v6
	v_mul_lo_u16_sdwa v24, v6, s2 dst_sel:DWORD dst_unused:UNUSED_PAD src0_sel:BYTE_0 src1_sel:DWORD
	v_mul_lo_u16_sdwa v28, v27, s2 dst_sel:DWORD dst_unused:UNUSED_PAD src0_sel:BYTE_0 src1_sel:DWORD
	v_lshrrev_b16_e32 v91, 12, v24
	v_lshrrev_b16_e32 v93, 12, v28
	v_mul_lo_u16_e32 v24, 17, v91
	v_mul_lo_u16_e32 v28, 17, v93
	v_sub_u16_e32 v92, v6, v24
	v_mov_b32_e32 v24, 5
	v_sub_u16_e32 v94, v27, v28
	v_mul_u32_u24_sdwa v25, v92, v24 dst_sel:DWORD dst_unused:UNUSED_PAD src0_sel:BYTE_0 src1_sel:DWORD
	v_mul_u32_u24_sdwa v24, v94, v24 dst_sel:DWORD dst_unused:UNUSED_PAD src0_sel:BYTE_0 src1_sel:DWORD
	v_lshlrev_b32_e32 v25, 3, v25
	v_add_u32_e32 v26, 0xcc, v6
	v_lshlrev_b32_e32 v24, 3, v24
	s_mov_b32 s2, 0xf0f1
	global_load_dwordx4 v[41:44], v25, s[12:13] offset:16
	global_load_dwordx4 v[65:68], v25, s[12:13]
	global_load_dwordx2 v[85:86], v25, s[12:13] offset:32
	global_load_dwordx4 v[69:72], v24, s[12:13]
	global_load_dwordx2 v[87:88], v24, s[12:13] offset:32
	global_load_dwordx4 v[73:76], v24, s[12:13] offset:16
	v_mul_u32_u24_sdwa v24, v26, s2 dst_sel:DWORD dst_unused:UNUSED_PAD src0_sel:WORD_0 src1_sel:DWORD
	v_lshrrev_b32_e32 v24, 20, v24
	v_mul_lo_u16_e32 v24, 17, v24
	v_sub_u16_e32 v95, v26, v24
	v_mul_u32_u24_e32 v24, 5, v95
	v_lshlrev_b32_e32 v24, 3, v24
	global_load_dwordx4 v[77:80], v24, s[12:13]
	global_load_dwordx4 v[81:84], v24, s[12:13] offset:16
	global_load_dwordx2 v[89:90], v24, s[12:13] offset:32
	s_movk_i32 s2, 0x198
	s_waitcnt vmcnt(0) lgkmcnt(0)
	s_barrier
	v_mul_f32_e32 v34, v54, v42
	v_mul_f32_e32 v40, v16, v68
	;; [unrolled: 1-line block ×6, first 2 shown]
	v_fma_f32 v40, v52, v67, -v40
	v_mul_f32_e32 v37, v56, v44
	v_mul_f32_e32 v44, v22, v86
	;; [unrolled: 1-line block ×12, first 2 shown]
	v_fmac_f32_e32 v34, v18, v41
	v_fma_f32 v18, v56, v43, -v42
	v_fmac_f32_e32 v27, v9, v83
	v_add_f32_e32 v9, v63, v40
	v_mul_f32_e32 v36, v52, v68
	v_mul_f32_e32 v68, v15, v70
	;; [unrolled: 1-line block ×6, first 2 shown]
	v_fmac_f32_e32 v29, v19, v73
	v_add_f32_e32 v19, v9, v18
	v_add_f32_e32 v9, v40, v18
	v_mul_f32_e32 v30, v64, v88
	v_fmac_f32_e32 v36, v16, v67
	v_fmac_f32_e32 v37, v20, v43
	v_fmac_f32_e32 v63, -0.5, v9
	v_mul_f32_e32 v74, v21, v76
	v_mul_f32_e32 v33, v57, v76
	;; [unrolled: 1-line block ×3, first 2 shown]
	v_fma_f32 v38, v48, v65, -v38
	v_fma_f32 v48, v54, v41, -v66
	v_fmac_f32_e32 v30, v39, v87
	v_sub_f32_e32 v9, v36, v37
	v_mov_b32_e32 v39, v63
	v_fma_f32 v41, v58, v85, -v44
	v_fmac_f32_e32 v39, 0x3f5db3d7, v9
	v_fmac_f32_e32 v63, 0xbf5db3d7, v9
	v_add_f32_e32 v9, v38, v48
	v_add_f32_e32 v44, v9, v41
	;; [unrolled: 1-line block ×3, first 2 shown]
	v_fmac_f32_e32 v35, v22, v85
	v_fmac_f32_e32 v33, v21, v75
	v_mul_f32_e32 v21, v46, v90
	v_fmac_f32_e32 v38, -0.5, v9
	v_mul_f32_e32 v84, v10, v90
	v_fmac_f32_e32 v21, v10, v89
	v_sub_f32_e32 v10, v34, v35
	v_mov_b32_e32 v9, v38
	v_fmac_f32_e32 v32, v14, v65
	v_fmac_f32_e32 v9, 0x3f5db3d7, v10
	;; [unrolled: 1-line block ×3, first 2 shown]
	v_add_f32_e32 v10, v34, v35
	v_fma_f32 v10, -0.5, v10, v32
	v_fma_f32 v20, v11, v79, -v78
	v_fma_f32 v11, v12, v81, -v80
	v_sub_f32_e32 v41, v48, v41
	v_mov_b32_e32 v12, v10
	v_fmac_f32_e32 v12, 0xbf5db3d7, v41
	v_fmac_f32_e32 v28, v15, v69
	v_fma_f32 v15, v53, v71, -v70
	v_fmac_f32_e32 v10, 0x3f5db3d7, v41
	v_mul_f32_e32 v41, 0x3f5db3d7, v12
	v_fma_f32 v16, v57, v75, -v74
	v_add_f32_e32 v48, v19, v44
	v_fmac_f32_e32 v41, 0.5, v9
	v_sub_f32_e32 v44, v19, v44
	v_add_f32_e32 v19, v47, v15
	v_fmac_f32_e32 v24, v50, v77
	v_add_f32_e32 v50, v39, v41
	v_sub_f32_e32 v52, v39, v41
	v_add_f32_e32 v39, v19, v16
	v_add_f32_e32 v19, v15, v16
	v_fmac_f32_e32 v31, v17, v71
	v_fmac_f32_e32 v47, -0.5, v19
	v_fma_f32 v14, v51, v69, -v68
	v_fma_f32 v42, v55, v73, -v72
	v_sub_f32_e32 v19, v31, v33
	v_mov_b32_e32 v41, v47
	v_fma_f32 v43, v64, v87, -v76
	v_fmac_f32_e32 v41, 0x3f5db3d7, v19
	v_fmac_f32_e32 v47, 0xbf5db3d7, v19
	v_add_f32_e32 v19, v14, v42
	v_fma_f32 v22, v45, v83, -v82
	v_mul_f32_e32 v45, -0.5, v38
	v_add_f32_e32 v54, v19, v43
	v_add_f32_e32 v19, v42, v43
	v_fmac_f32_e32 v45, 0x3f5db3d7, v10
	v_fmac_f32_e32 v14, -0.5, v19
	v_add_f32_e32 v51, v63, v45
	v_sub_f32_e32 v53, v63, v45
	v_sub_f32_e32 v45, v29, v30
	v_mov_b32_e32 v19, v14
	v_fmac_f32_e32 v19, 0x3f5db3d7, v45
	v_fmac_f32_e32 v14, 0xbf5db3d7, v45
	v_add_f32_e32 v45, v29, v30
	v_fma_f32 v45, -0.5, v45, v28
	v_fma_f32 v17, v46, v89, -v84
	v_sub_f32_e32 v42, v42, v43
	v_mov_b32_e32 v46, v45
	v_fmac_f32_e32 v46, 0xbf5db3d7, v42
	v_fma_f32 v8, v8, v77, -v86
	v_fmac_f32_e32 v45, 0x3f5db3d7, v42
	v_add_f32_e32 v55, v39, v54
	v_mul_f32_e32 v42, 0x3f5db3d7, v46
	v_sub_f32_e32 v54, v39, v54
	v_add_f32_e32 v39, v11, v17
	v_fmac_f32_e32 v25, v60, v81
	v_fmac_f32_e32 v42, 0.5, v19
	v_fma_f32 v39, -0.5, v39, v8
	v_add_f32_e32 v56, v41, v42
	v_sub_f32_e32 v58, v41, v42
	v_sub_f32_e32 v42, v25, v21
	v_mov_b32_e32 v41, v39
	v_mul_f32_e32 v43, -0.5, v14
	v_fmac_f32_e32 v41, 0x3f5db3d7, v42
	v_fmac_f32_e32 v39, 0xbf5db3d7, v42
	v_add_f32_e32 v42, v25, v21
	v_fmac_f32_e32 v43, 0x3f5db3d7, v45
	v_fma_f32 v42, -0.5, v42, v24
	v_fmac_f32_e32 v26, v59, v79
	v_add_f32_e32 v57, v47, v43
	v_sub_f32_e32 v59, v47, v43
	v_sub_f32_e32 v47, v11, v17
	v_mov_b32_e32 v43, v42
	v_mov_b32_e32 v60, 2
	v_fmac_f32_e32 v43, 0xbf5db3d7, v47
	v_fmac_f32_e32 v42, 0x3f5db3d7, v47
	v_mad_u32_u24 v47, v91, s2, 0
	v_lshlrev_b32_sdwa v63, v60, v92 dst_sel:DWORD dst_unused:UNUSED_PAD src0_sel:DWORD src1_sel:BYTE_0
	v_add3_u32 v47, v47, v63, v0
	ds_write2_b32 v47, v48, v50 offset1:17
	ds_write2_b32 v47, v51, v44 offset0:34 offset1:51
	ds_write2_b32 v47, v52, v53 offset0:68 offset1:85
	v_mad_u32_u24 v44, v93, s2, 0
	v_lshlrev_b32_sdwa v48, v60, v94 dst_sel:DWORD dst_unused:UNUSED_PAD src0_sel:DWORD src1_sel:BYTE_0
	v_add3_u32 v48, v44, v48, v0
	v_lshlrev_b32_e32 v44, 2, v95
	ds_write2_b32 v48, v55, v56 offset1:17
	ds_write2_b32 v48, v57, v54 offset0:34 offset1:51
	ds_write2_b32 v48, v58, v59 offset0:68 offset1:85
	s_and_saveexec_b64 s[2:3], vcc
	s_cbranch_execz .LBB0_23
; %bb.22:
	v_add_f32_e32 v50, v20, v22
	v_fma_f32 v50, -0.5, v50, v7
	v_sub_f32_e32 v51, v26, v27
	v_mov_b32_e32 v52, v50
	v_add_f32_e32 v7, v7, v20
	v_add_f32_e32 v8, v8, v11
	v_fmac_f32_e32 v52, 0xbf5db3d7, v51
	v_fmac_f32_e32 v50, 0x3f5db3d7, v51
	v_mul_f32_e32 v51, 0x3f5db3d7, v43
	v_add_f32_e32 v7, v7, v22
	v_add_f32_e32 v8, v8, v17
	v_mul_f32_e32 v53, -0.5, v39
	v_fmac_f32_e32 v51, 0.5, v41
	v_sub_f32_e32 v11, v7, v8
	v_add_f32_e32 v7, v7, v8
	v_add3_u32 v8, 0, v44, v0
	v_fmac_f32_e32 v53, 0x3f5db3d7, v42
	v_sub_f32_e32 v55, v50, v51
	v_add_f32_e32 v50, v50, v51
	v_add_u32_e32 v51, 0x1000, v8
	v_sub_f32_e32 v54, v52, v53
	v_add_f32_e32 v17, v52, v53
	ds_write2_b32 v51, v7, v50 offset0:200 offset1:217
	ds_write2_b32 v51, v17, v11 offset0:234 offset1:251
	v_add_u32_e32 v7, 0x1400, v8
	ds_write2_b32 v7, v55, v54 offset0:12 offset1:29
.LBB0_23:
	s_or_b64 exec, exec, s[2:3]
	v_add_f32_e32 v8, v36, v37
	v_add_f32_e32 v7, v23, v36
	v_fmac_f32_e32 v23, -0.5, v8
	v_sub_f32_e32 v8, v40, v18
	v_mov_b32_e32 v11, v23
	v_fmac_f32_e32 v11, 0xbf5db3d7, v8
	v_fmac_f32_e32 v23, 0x3f5db3d7, v8
	v_add_f32_e32 v8, v32, v34
	v_add_f32_e32 v7, v7, v37
	;; [unrolled: 1-line block ×4, first 2 shown]
	v_mul_f32_e32 v9, 0xbf5db3d7, v9
	v_sub_f32_e32 v36, v7, v8
	v_add_f32_e32 v8, v31, v33
	v_fmac_f32_e32 v9, 0.5, v12
	v_add_f32_e32 v7, v13, v31
	v_fmac_f32_e32 v13, -0.5, v8
	v_add_f32_e32 v34, v11, v9
	v_mul_f32_e32 v10, -0.5, v10
	v_sub_f32_e32 v37, v11, v9
	v_sub_f32_e32 v8, v15, v16
	v_mov_b32_e32 v9, v13
	v_fmac_f32_e32 v10, 0xbf5db3d7, v38
	v_fmac_f32_e32 v9, 0xbf5db3d7, v8
	;; [unrolled: 1-line block ×3, first 2 shown]
	v_add_f32_e32 v8, v28, v29
	v_add_f32_e32 v35, v23, v10
	v_sub_f32_e32 v23, v23, v10
	v_add_f32_e32 v7, v7, v33
	v_add_f32_e32 v8, v8, v30
	v_mul_f32_e32 v10, 0xbf5db3d7, v19
	v_mul_f32_e32 v11, -0.5, v45
	v_add_f32_e32 v28, v7, v8
	v_fmac_f32_e32 v10, 0.5, v46
	v_fmac_f32_e32 v11, 0xbf5db3d7, v14
	v_sub_f32_e32 v31, v7, v8
	v_add_u32_e32 v7, 0x400, v61
	v_add_f32_e32 v29, v9, v10
	v_add_f32_e32 v30, v13, v11
	v_sub_f32_e32 v33, v9, v10
	v_sub_f32_e32 v38, v13, v11
	s_waitcnt lgkmcnt(0)
	s_barrier
	ds_read_b32 v19, v62
	ds_read2_b32 v[15:16], v61 offset0:102 offset1:204
	ds_read2_b32 v[11:12], v7 offset0:50 offset1:152
	v_add_u32_e32 v7, 0x600, v61
	v_add_u32_e32 v9, 0xa00, v61
	;; [unrolled: 1-line block ×4, first 2 shown]
	ds_read2_b32 v[7:8], v7 offset0:126 offset1:228
	ds_read2_b32 v[9:10], v9 offset0:74 offset1:176
	;; [unrolled: 1-line block ×4, first 2 shown]
	s_waitcnt lgkmcnt(0)
	s_barrier
	ds_write2_b32 v47, v32, v34 offset1:17
	ds_write2_b32 v47, v35, v36 offset0:34 offset1:51
	ds_write2_b32 v47, v37, v23 offset0:68 offset1:85
	ds_write2_b32 v48, v28, v29 offset1:17
	ds_write2_b32 v48, v30, v31 offset0:34 offset1:51
	ds_write2_b32 v48, v33, v38 offset0:68 offset1:85
	s_and_saveexec_b64 s[2:3], vcc
	s_cbranch_execz .LBB0_25
; %bb.24:
	v_add_f32_e32 v23, v49, v26
	v_add_f32_e32 v26, v26, v27
	v_fmac_f32_e32 v49, -0.5, v26
	v_sub_f32_e32 v20, v20, v22
	v_mov_b32_e32 v22, v49
	v_fmac_f32_e32 v22, 0xbf5db3d7, v20
	v_fmac_f32_e32 v49, 0x3f5db3d7, v20
	v_add_f32_e32 v20, v24, v25
	v_mul_f32_e32 v24, 0xbf5db3d7, v41
	v_mul_f32_e32 v26, -0.5, v42
	v_add_f32_e32 v23, v23, v27
	v_add_f32_e32 v20, v20, v21
	v_fmac_f32_e32 v24, 0.5, v43
	v_fmac_f32_e32 v26, 0xbf5db3d7, v39
	v_add3_u32 v0, 0, v44, v0
	v_add_f32_e32 v21, v23, v20
	v_add_f32_e32 v25, v22, v24
	v_sub_f32_e32 v20, v23, v20
	v_sub_f32_e32 v22, v22, v24
	;; [unrolled: 1-line block ×3, first 2 shown]
	v_add_u32_e32 v24, 0x1000, v0
	v_add_u32_e32 v0, 0x1400, v0
	v_add_f32_e32 v27, v49, v26
	ds_write2_b32 v24, v21, v25 offset0:200 offset1:217
	ds_write2_b32 v24, v27, v20 offset0:234 offset1:251
	;; [unrolled: 1-line block ×3, first 2 shown]
.LBB0_25:
	s_or_b64 exec, exec, s[2:3]
	s_waitcnt lgkmcnt(0)
	s_barrier
	s_and_saveexec_b64 s[2:3], s[0:1]
	s_cbranch_execz .LBB0_27
; %bb.26:
	v_mul_u32_u24_e32 v0, 12, v6
	v_lshlrev_b32_e32 v0, 3, v0
	global_load_dwordx4 v[20:23], v0, s[12:13] offset:760
	global_load_dwordx4 v[24:27], v0, s[12:13] offset:680
	;; [unrolled: 1-line block ×6, first 2 shown]
	v_mul_lo_u32 v56, s5, v4
	v_mul_lo_u32 v57, s4, v5
	v_mad_u64_u32 v[5:6], s[0:1], s4, v4, 0
	ds_read2_b32 v[44:45], v61 offset0:102 offset1:204
	v_add_u32_e32 v4, 0x1000, v61
	v_add_u32_e32 v48, 0xc00, v61
	;; [unrolled: 1-line block ×5, first 2 shown]
	ds_read_b32 v0, v62
	ds_read2_b32 v[46:47], v4 offset0:98 offset1:200
	ds_read2_b32 v[48:49], v48 offset0:150 offset1:252
	ds_read2_b32 v[50:51], v50 offset0:50 offset1:152
	ds_read2_b32 v[52:53], v52 offset0:74 offset1:176
	ds_read2_b32 v[54:55], v54 offset0:126 offset1:228
	v_add3_u32 v6, v6, v57, v56
	s_mov_b32 s1, 0xbf3f9e67
	s_mov_b32 s2, 0x3df6dbef
	;; [unrolled: 1-line block ×6, first 2 shown]
	v_lshlrev_b64 v[5:6], 3, v[5:6]
	s_movk_i32 s0, 0x1000
	v_add_co_u32_e32 v5, vcc, s10, v5
	s_waitcnt vmcnt(5)
	v_mul_f32_e32 v4, v18, v23
	s_waitcnt vmcnt(4)
	v_mul_f32_e32 v56, v15, v25
	v_mul_f32_e32 v57, v17, v21
	;; [unrolled: 1-line block ×3, first 2 shown]
	s_waitcnt vmcnt(2)
	v_mul_f32_e32 v60, v11, v33
	s_waitcnt lgkmcnt(2)
	v_mul_f32_e32 v33, v50, v33
	v_fmac_f32_e32 v4, v47, v22
	v_fmac_f32_e32 v56, v44, v24
	v_mul_f32_e32 v25, v44, v25
	v_mul_f32_e32 v23, v47, v23
	;; [unrolled: 1-line block ×8, first 2 shown]
	v_fmac_f32_e32 v57, v46, v20
	v_fmac_f32_e32 v58, v45, v26
	;; [unrolled: 1-line block ×3, first 2 shown]
	v_fma_f32 v32, v11, v32, -v33
	v_add_f32_e32 v33, v4, v56
	v_mul_f32_e32 v27, v45, v27
	v_mul_f32_e32 v21, v46, v21
	v_fma_f32 v24, v15, v24, -v25
	v_fma_f32 v44, v18, v22, -v23
	v_fmac_f32_e32 v59, v49, v30
	v_fma_f32 v30, v14, v30, -v31
	v_fmac_f32_e32 v61, v48, v28
	v_fmac_f32_e32 v62, v51, v34
	v_fma_f32 v31, v12, v34, -v35
	v_fma_f32 v28, v13, v28, -v29
	v_add_f32_e32 v34, v57, v58
	v_mul_f32_e32 v13, 0xbf3f9e67, v33
	v_fma_f32 v26, v16, v26, -v27
	v_fma_f32 v27, v17, v20, -v21
	v_sub_f32_e32 v22, v24, v44
	v_mul_f32_e32 v14, 0x3df6dbef, v34
	v_mov_b32_e32 v11, v13
	v_sub_f32_e32 v23, v26, v27
	v_mov_b32_e32 v12, v14
	v_fmac_f32_e32 v11, 0x3f29c268, v22
	v_add_f32_e32 v35, v59, v60
	v_fmac_f32_e32 v12, 0xbf7e222b, v23
	v_add_f32_e32 v11, v0, v11
	s_waitcnt vmcnt(1)
	v_mul_f32_e32 v63, v10, v39
	s_waitcnt vmcnt(0)
	v_mul_f32_e32 v64, v7, v41
	v_add_f32_e32 v45, v61, v62
	v_mul_f32_e32 v15, 0x3f116cb1, v35
	v_add_f32_e32 v11, v11, v12
	s_waitcnt lgkmcnt(0)
	v_mul_f32_e32 v12, v54, v41
	v_fmac_f32_e32 v63, v53, v38
	v_fmac_f32_e32 v64, v54, v40
	v_sub_f32_e32 v25, v32, v30
	v_mul_f32_e32 v16, 0xbf788fa5, v45
	v_mov_b32_e32 v17, v15
	v_fma_f32 v40, v7, v40, -v12
	v_mul_f32_e32 v7, v53, v39
	v_mul_f32_e32 v41, v9, v37
	;; [unrolled: 1-line block ×3, first 2 shown]
	v_sub_f32_e32 v29, v31, v28
	v_add_f32_e32 v46, v63, v64
	v_mov_b32_e32 v18, v16
	v_fmac_f32_e32 v17, 0x3f52af12, v25
	v_fma_f32 v38, v10, v38, -v7
	v_fmac_f32_e32 v41, v52, v36
	v_fmac_f32_e32 v47, v55, v42
	v_mul_f32_e32 v10, v55, v43
	v_fmac_f32_e32 v18, 0xbe750f2a, v29
	v_add_f32_e32 v11, v11, v17
	v_mul_f32_e32 v17, 0x3f62ad3f, v46
	v_add_f32_e32 v48, v41, v47
	v_fma_f32 v42, v8, v42, -v10
	v_mul_f32_e32 v8, v52, v37
	v_add_f32_e32 v11, v11, v18
	v_sub_f32_e32 v39, v40, v38
	v_mov_b32_e32 v7, v17
	v_mul_f32_e32 v18, 0xbeb58ec6, v48
	v_fma_f32 v36, v9, v36, -v8
	v_fmac_f32_e32 v7, 0xbeedf032, v39
	v_sub_f32_e32 v37, v42, v36
	v_mov_b32_e32 v8, v18
	v_sub_f32_e32 v49, v56, v4
	v_add_f32_e32 v7, v11, v7
	v_fmac_f32_e32 v8, 0x3f6f5d39, v37
	v_mul_f32_e32 v20, 0xbf29c268, v49
	v_sub_f32_e32 v51, v58, v57
	v_add_f32_e32 v8, v7, v8
	v_add_f32_e32 v43, v44, v24
	v_mov_b32_e32 v7, v20
	v_mul_f32_e32 v21, 0x3f7e222b, v51
	v_fmac_f32_e32 v7, 0xbf3f9e67, v43
	v_add_f32_e32 v50, v27, v26
	v_mov_b32_e32 v9, v21
	v_sub_f32_e32 v53, v60, v59
	v_add_f32_e32 v7, v19, v7
	v_fmac_f32_e32 v9, 0x3df6dbef, v50
	v_mul_f32_e32 v54, 0xbf52af12, v53
	v_add_f32_e32 v7, v7, v9
	v_add_f32_e32 v52, v30, v32
	v_mov_b32_e32 v9, v54
	v_sub_f32_e32 v65, v62, v61
	v_fmac_f32_e32 v9, 0x3f116cb1, v52
	v_mul_f32_e32 v66, 0x3e750f2a, v65
	v_add_f32_e32 v7, v7, v9
	v_add_f32_e32 v55, v28, v31
	v_mov_b32_e32 v9, v66
	v_sub_f32_e32 v68, v64, v63
	;; [unrolled: 6-line block ×3, first 2 shown]
	v_fmac_f32_e32 v9, 0x3f62ad3f, v67
	v_mul_f32_e32 v72, 0xbf6f5d39, v71
	v_add_f32_e32 v7, v7, v9
	v_add_f32_e32 v70, v36, v42
	v_mov_b32_e32 v9, v72
	v_fmac_f32_e32 v9, 0xbeb58ec6, v70
	v_mul_f32_e32 v11, 0xbf788fa5, v33
	v_add_f32_e32 v7, v7, v9
	v_mov_b32_e32 v9, v11
	v_mul_f32_e32 v12, 0x3f62ad3f, v34
	v_fmac_f32_e32 v9, 0x3e750f2a, v22
	v_mov_b32_e32 v10, v12
	v_add_f32_e32 v9, v0, v9
	v_fmac_f32_e32 v10, 0xbeedf032, v23
	v_mul_f32_e32 v73, 0xbf3f9e67, v35
	v_add_f32_e32 v9, v9, v10
	v_mov_b32_e32 v10, v73
	v_fmac_f32_e32 v10, 0x3f29c268, v25
	v_mul_f32_e32 v74, 0x3f116cb1, v45
	v_add_f32_e32 v9, v9, v10
	v_mov_b32_e32 v10, v74
	;; [unrolled: 4-line block ×3, first 2 shown]
	v_fmac_f32_e32 v13, 0xbf29c268, v22
	v_fmac_f32_e32 v10, 0x3f6f5d39, v39
	v_mul_f32_e32 v76, 0x3df6dbef, v48
	v_add_f32_e32 v13, v0, v13
	v_fmac_f32_e32 v14, 0x3f7e222b, v23
	v_add_f32_e32 v9, v9, v10
	v_mov_b32_e32 v10, v76
	v_add_f32_e32 v13, v13, v14
	v_fmac_f32_e32 v15, 0xbf52af12, v25
	v_fmac_f32_e32 v10, 0xbf7e222b, v37
	v_mul_f32_e32 v77, 0xbe750f2a, v49
	v_add_f32_e32 v13, v13, v15
	v_fmac_f32_e32 v16, 0x3e750f2a, v29
	v_add_f32_e32 v10, v9, v10
	v_mov_b32_e32 v9, v77
	v_mul_f32_e32 v78, 0x3eedf032, v51
	v_add_f32_e32 v13, v13, v16
	v_fmac_f32_e32 v17, 0x3eedf032, v39
	v_fmac_f32_e32 v9, 0xbf788fa5, v43
	v_mov_b32_e32 v79, v78
	v_add_f32_e32 v13, v13, v17
	v_fmac_f32_e32 v18, 0xbf6f5d39, v37
	v_add_f32_e32 v9, v19, v9
	v_fmac_f32_e32 v79, 0x3f62ad3f, v50
	v_fmac_f32_e32 v11, 0xbe750f2a, v22
	v_add_f32_e32 v14, v13, v18
	v_fma_f32 v13, v43, s1, -v20
	v_add_f32_e32 v9, v9, v79
	v_mul_f32_e32 v79, 0xbf29c268, v53
	v_add_f32_e32 v11, v0, v11
	v_fmac_f32_e32 v12, 0x3eedf032, v23
	v_add_f32_e32 v13, v19, v13
	v_fma_f32 v15, v50, s2, -v21
	v_mov_b32_e32 v80, v79
	v_add_f32_e32 v11, v11, v12
	v_fmac_f32_e32 v73, 0xbf29c268, v25
	v_add_f32_e32 v13, v13, v15
	v_fma_f32 v15, v52, s3, -v54
	v_fmac_f32_e32 v80, 0xbf3f9e67, v52
	v_add_f32_e32 v11, v11, v73
	v_fmac_f32_e32 v74, 0x3f52af12, v29
	v_add_f32_e32 v13, v13, v15
	v_fma_f32 v15, v55, s4, -v66
	v_add_f32_e32 v9, v9, v80
	v_mul_f32_e32 v80, 0x3f52af12, v65
	v_add_f32_e32 v11, v11, v74
	v_fmac_f32_e32 v75, 0xbf6f5d39, v39
	v_add_f32_e32 v13, v13, v15
	v_fma_f32 v15, v67, s5, -v69
	v_mov_b32_e32 v81, v80
	v_add_f32_e32 v11, v11, v75
	v_fmac_f32_e32 v76, 0x3f7e222b, v37
	v_add_f32_e32 v13, v13, v15
	v_fma_f32 v15, v70, s6, -v72
	v_mul_f32_e32 v54, 0xbf6f5d39, v22
	v_fmac_f32_e32 v81, 0x3f116cb1, v55
	v_add_f32_e32 v12, v11, v76
	v_fma_f32 v11, v43, s4, -v77
	v_add_f32_e32 v13, v13, v15
	v_mov_b32_e32 v15, v54
	v_mul_f32_e32 v66, 0x3f29c268, v23
	v_add_f32_e32 v9, v9, v81
	v_mul_f32_e32 v81, 0xbf6f5d39, v68
	v_add_f32_e32 v11, v19, v11
	v_fma_f32 v73, v50, s5, -v78
	v_fmac_f32_e32 v15, 0xbeb58ec6, v33
	v_mov_b32_e32 v16, v66
	v_mov_b32_e32 v82, v81
	v_add_f32_e32 v11, v11, v73
	v_fma_f32 v73, v52, s1, -v79
	v_add_f32_e32 v15, v0, v15
	v_fmac_f32_e32 v16, 0xbf3f9e67, v34
	v_mul_f32_e32 v69, 0x3eedf032, v25
	v_fmac_f32_e32 v82, 0xbeb58ec6, v67
	v_add_f32_e32 v11, v11, v73
	v_fma_f32 v73, v55, s3, -v80
	v_add_f32_e32 v15, v15, v16
	v_mov_b32_e32 v16, v69
	v_add_f32_e32 v9, v9, v82
	v_mul_f32_e32 v82, 0x3f7e222b, v71
	v_add_f32_e32 v11, v11, v73
	v_fma_f32 v73, v67, s6, -v81
	v_fmac_f32_e32 v16, 0x3f62ad3f, v35
	v_mul_f32_e32 v72, 0xbf7e222b, v29
	v_add_f32_e32 v11, v11, v73
	v_fma_f32 v73, v70, s2, -v82
	v_add_f32_e32 v15, v15, v16
	v_mov_b32_e32 v16, v72
	v_add_f32_e32 v11, v11, v73
	v_fmac_f32_e32 v16, 0x3df6dbef, v45
	v_mul_f32_e32 v73, 0x3e750f2a, v39
	v_add_f32_e32 v15, v15, v16
	v_mov_b32_e32 v16, v73
	v_fmac_f32_e32 v16, 0xbf788fa5, v46
	v_mul_f32_e32 v74, 0x3f52af12, v37
	v_add_f32_e32 v15, v15, v16
	v_mov_b32_e32 v16, v74
	v_fmac_f32_e32 v16, 0x3f116cb1, v48
	v_mul_f32_e32 v75, 0xbf6f5d39, v49
	v_add_f32_e32 v16, v15, v16
	v_fma_f32 v15, v43, s6, -v75
	v_mul_f32_e32 v76, 0x3f29c268, v51
	v_add_f32_e32 v15, v19, v15
	v_fma_f32 v17, v50, s1, -v76
	;; [unrolled: 3-line block ×6, first 2 shown]
	v_mul_f32_e32 v81, 0xbf7e222b, v22
	v_mov_b32_e32 v83, v82
	v_add_f32_e32 v15, v15, v17
	v_mov_b32_e32 v17, v81
	v_mul_f32_e32 v82, 0xbe750f2a, v23
	v_fmac_f32_e32 v83, 0x3df6dbef, v70
	v_fmac_f32_e32 v17, 0x3df6dbef, v33
	v_mov_b32_e32 v18, v82
	v_add_f32_e32 v9, v9, v83
	v_add_f32_e32 v17, v0, v17
	v_fmac_f32_e32 v18, 0xbf788fa5, v34
	v_mul_f32_e32 v83, 0x3f6f5d39, v25
	v_add_f32_e32 v17, v17, v18
	v_mov_b32_e32 v18, v83
	v_fmac_f32_e32 v18, 0xbeb58ec6, v35
	v_mul_f32_e32 v84, 0x3eedf032, v29
	v_add_f32_e32 v17, v17, v18
	v_mov_b32_e32 v18, v84
	;; [unrolled: 4-line block ×4, first 2 shown]
	v_fmac_f32_e32 v18, 0xbf3f9e67, v48
	v_mul_f32_e32 v87, 0xbf7e222b, v49
	v_add_f32_e32 v18, v17, v18
	v_fma_f32 v17, v43, s2, -v87
	v_mul_f32_e32 v88, 0xbe750f2a, v51
	v_add_f32_e32 v17, v19, v17
	v_fma_f32 v20, v50, s4, -v88
	;; [unrolled: 3-line block ×6, first 2 shown]
	v_mul_f32_e32 v93, 0xbf52af12, v22
	v_add_f32_e32 v17, v17, v20
	v_mov_b32_e32 v20, v93
	v_mul_f32_e32 v94, 0xbf6f5d39, v23
	v_fmac_f32_e32 v20, 0x3f116cb1, v33
	v_mov_b32_e32 v21, v94
	v_add_f32_e32 v20, v0, v20
	v_fmac_f32_e32 v21, 0xbeb58ec6, v34
	v_mul_f32_e32 v95, 0xbe750f2a, v25
	v_add_f32_e32 v20, v20, v21
	v_mov_b32_e32 v21, v95
	v_fmac_f32_e32 v21, 0xbf788fa5, v35
	v_mul_f32_e32 v96, 0x3f29c268, v29
	v_add_f32_e32 v20, v20, v21
	v_mov_b32_e32 v21, v96
	;; [unrolled: 4-line block ×4, first 2 shown]
	v_fmac_f32_e32 v21, 0x3f62ad3f, v48
	v_mul_f32_e32 v99, 0xbf52af12, v49
	v_add_f32_e32 v21, v20, v21
	v_fma_f32 v20, v43, s3, -v99
	v_mul_f32_e32 v100, 0xbf6f5d39, v51
	v_add_f32_e32 v20, v19, v20
	v_fma_f32 v101, v50, s6, -v100
	v_add_f32_e32 v20, v20, v101
	v_mul_f32_e32 v101, 0xbe750f2a, v53
	v_fma_f32 v102, v52, s4, -v101
	v_add_f32_e32 v20, v20, v102
	v_mul_f32_e32 v102, 0x3f29c268, v65
	v_fma_f32 v103, v55, s1, -v102
	v_add_f32_e32 v20, v20, v103
	v_mul_f32_e32 v103, 0x3f7e222b, v68
	v_fma_f32 v104, v67, s2, -v103
	v_add_f32_e32 v20, v20, v104
	v_mul_f32_e32 v104, 0x3eedf032, v71
	v_fma_f32 v105, v70, s5, -v104
	v_add_f32_e32 v20, v20, v105
	v_mul_f32_e32 v105, 0xbeedf032, v22
	v_mov_b32_e32 v22, v105
	v_mul_f32_e32 v106, 0xbf52af12, v23
	v_fmac_f32_e32 v22, 0x3f62ad3f, v33
	v_mov_b32_e32 v23, v106
	v_add_f32_e32 v22, v0, v22
	v_fmac_f32_e32 v23, 0x3f116cb1, v34
	v_mul_f32_e32 v107, 0xbf7e222b, v25
	v_add_f32_e32 v22, v22, v23
	v_mov_b32_e32 v23, v107
	v_fmac_f32_e32 v23, 0x3df6dbef, v35
	v_mul_f32_e32 v108, 0xbf6f5d39, v29
	v_add_f32_e32 v22, v22, v23
	v_mov_b32_e32 v23, v108
	;; [unrolled: 4-line block ×4, first 2 shown]
	v_fmac_f32_e32 v23, 0xbf788fa5, v48
	v_mul_f32_e32 v49, 0xbeedf032, v49
	v_add_f32_e32 v23, v22, v23
	v_fma_f32 v22, v43, s5, -v49
	v_mul_f32_e32 v51, 0xbf52af12, v51
	v_add_f32_e32 v22, v19, v22
	v_fma_f32 v25, v50, s3, -v51
	;; [unrolled: 3-line block ×6, first 2 shown]
	v_add_f32_e32 v22, v22, v25
	v_add_f32_e32 v25, v0, v56
	;; [unrolled: 1-line block ×25, first 2 shown]
	v_fma_f32 v4, v33, s6, -v54
	v_add_f32_e32 v4, v0, v4
	v_fma_f32 v26, v34, s1, -v66
	v_add_f32_e32 v4, v4, v26
	v_fma_f32 v26, v35, s5, -v69
	v_add_f32_e32 v4, v4, v26
	v_fma_f32 v26, v45, s2, -v72
	v_add_f32_e32 v4, v4, v26
	v_fma_f32 v26, v46, s4, -v73
	v_add_f32_e32 v4, v4, v26
	v_fma_f32 v26, v48, s3, -v74
	v_fmac_f32_e32 v75, 0xbeb58ec6, v43
	v_add_f32_e32 v27, v4, v26
	v_add_f32_e32 v4, v19, v75
	v_fmac_f32_e32 v76, 0xbf3f9e67, v50
	v_add_f32_e32 v4, v4, v76
	v_fmac_f32_e32 v77, 0x3f62ad3f, v52
	v_add_f32_e32 v4, v4, v77
	v_fmac_f32_e32 v78, 0x3df6dbef, v55
	v_add_f32_e32 v4, v4, v78
	v_fmac_f32_e32 v79, 0xbf788fa5, v67
	v_add_f32_e32 v4, v4, v79
	v_fmac_f32_e32 v80, 0x3f116cb1, v70
	v_add_f32_e32 v26, v4, v80
	v_fma_f32 v4, v33, s2, -v81
	v_add_f32_e32 v4, v0, v4
	v_fma_f32 v28, v34, s4, -v82
	v_add_f32_e32 v4, v4, v28
	v_fma_f32 v28, v35, s6, -v83
	v_add_f32_e32 v4, v4, v28
	v_fma_f32 v28, v45, s5, -v84
	v_add_f32_e32 v4, v4, v28
	v_fma_f32 v28, v46, s3, -v85
	v_add_f32_e32 v4, v4, v28
	v_fma_f32 v28, v48, s1, -v86
	v_fmac_f32_e32 v87, 0x3df6dbef, v43
	v_add_f32_e32 v29, v4, v28
	v_add_f32_e32 v4, v19, v87
	v_fmac_f32_e32 v88, 0xbf788fa5, v50
	v_add_f32_e32 v4, v4, v88
	v_fmac_f32_e32 v89, 0xbeb58ec6, v52
	v_add_f32_e32 v4, v4, v89
	v_fmac_f32_e32 v90, 0x3f62ad3f, v55
	v_add_f32_e32 v4, v4, v90
	v_fmac_f32_e32 v91, 0x3f116cb1, v67
	v_add_f32_e32 v4, v4, v91
	v_fmac_f32_e32 v92, 0xbf3f9e67, v70
	v_add_f32_e32 v28, v4, v92
	v_fma_f32 v4, v33, s3, -v93
	v_add_f32_e32 v4, v0, v4
	v_fma_f32 v30, v34, s6, -v94
	v_add_f32_e32 v4, v4, v30
	v_fma_f32 v30, v35, s4, -v95
	v_add_f32_e32 v4, v4, v30
	v_fma_f32 v30, v45, s1, -v96
	v_add_f32_e32 v4, v4, v30
	v_fma_f32 v30, v46, s2, -v97
	v_add_f32_e32 v4, v4, v30
	v_fma_f32 v30, v48, s5, -v98
	v_fmac_f32_e32 v99, 0x3f116cb1, v43
	v_add_f32_e32 v31, v4, v30
	v_add_f32_e32 v4, v19, v99
	v_fmac_f32_e32 v100, 0xbeb58ec6, v50
	v_add_f32_e32 v4, v4, v100
	v_fmac_f32_e32 v101, 0xbf788fa5, v52
	v_add_f32_e32 v4, v4, v101
	v_fmac_f32_e32 v102, 0xbf3f9e67, v55
	v_add_f32_e32 v4, v4, v102
	v_fmac_f32_e32 v103, 0x3df6dbef, v67
	v_add_f32_e32 v4, v4, v103
	v_fmac_f32_e32 v104, 0x3f62ad3f, v70
	v_add_f32_e32 v30, v4, v104
	v_fma_f32 v4, v33, s5, -v105
	v_add_f32_e32 v0, v0, v4
	v_fma_f32 v4, v34, s3, -v106
	v_add_f32_e32 v0, v0, v4
	v_fma_f32 v4, v35, s2, -v107
	v_add_f32_e32 v0, v0, v4
	v_fma_f32 v4, v45, s6, -v108
	v_add_f32_e32 v0, v0, v4
	v_fma_f32 v4, v46, s1, -v39
	v_add_f32_e32 v0, v0, v4
	v_fma_f32 v4, v48, s4, -v37
	v_fmac_f32_e32 v49, 0x3f62ad3f, v43
	v_add_f32_e32 v33, v0, v4
	v_add_f32_e32 v0, v19, v49
	v_fmac_f32_e32 v51, 0x3f116cb1, v50
	v_add_f32_e32 v0, v0, v51
	v_fmac_f32_e32 v53, 0x3df6dbef, v52
	v_add_f32_e32 v0, v0, v53
	v_fmac_f32_e32 v65, 0xbeb58ec6, v55
	v_add_f32_e32 v0, v0, v65
	v_fmac_f32_e32 v68, 0xbf3f9e67, v67
	v_add_f32_e32 v0, v0, v68
	v_fmac_f32_e32 v71, 0xbf788fa5, v70
	v_add_f32_e32 v32, v0, v71
	v_mov_b32_e32 v0, s11
	v_addc_co_u32_e32 v6, vcc, v0, v6, vcc
	v_lshlrev_b64 v[0:1], 3, v[1:2]
	v_mov_b32_e32 v4, 0
	v_add_co_u32_e32 v2, vcc, v5, v0
	v_addc_co_u32_e32 v5, vcc, v6, v1, vcc
	v_lshlrev_b64 v[0:1], 3, v[3:4]
	v_add_co_u32_e32 v0, vcc, v2, v0
	v_addc_co_u32_e32 v1, vcc, v5, v1, vcc
	v_add_co_u32_e32 v2, vcc, s0, v0
	v_addc_co_u32_e32 v3, vcc, 0, v1, vcc
	global_store_dwordx2 v[0:1], v[24:25], off
	global_store_dwordx2 v[0:1], v[22:23], off offset:816
	global_store_dwordx2 v[0:1], v[20:21], off offset:1632
	global_store_dwordx2 v[0:1], v[17:18], off offset:2448
	global_store_dwordx2 v[0:1], v[15:16], off offset:3264
	global_store_dwordx2 v[0:1], v[13:14], off offset:4080
	v_add_co_u32_e32 v0, vcc, 0x2000, v0
	v_addc_co_u32_e32 v1, vcc, 0, v1, vcc
	global_store_dwordx2 v[2:3], v[11:12], off offset:800
	global_store_dwordx2 v[2:3], v[9:10], off offset:1616
	;; [unrolled: 1-line block ×7, first 2 shown]
.LBB0_27:
	s_endpgm
	.section	.rodata,"a",@progbits
	.p2align	6, 0x0
	.amdhsa_kernel fft_rtc_fwd_len1326_factors_17_6_13_wgs_204_tpt_102_halfLds_sp_op_CI_CI_unitstride_sbrr_dirReg
		.amdhsa_group_segment_fixed_size 0
		.amdhsa_private_segment_fixed_size 0
		.amdhsa_kernarg_size 104
		.amdhsa_user_sgpr_count 6
		.amdhsa_user_sgpr_private_segment_buffer 1
		.amdhsa_user_sgpr_dispatch_ptr 0
		.amdhsa_user_sgpr_queue_ptr 0
		.amdhsa_user_sgpr_kernarg_segment_ptr 1
		.amdhsa_user_sgpr_dispatch_id 0
		.amdhsa_user_sgpr_flat_scratch_init 0
		.amdhsa_user_sgpr_private_segment_size 0
		.amdhsa_uses_dynamic_stack 0
		.amdhsa_system_sgpr_private_segment_wavefront_offset 0
		.amdhsa_system_sgpr_workgroup_id_x 1
		.amdhsa_system_sgpr_workgroup_id_y 0
		.amdhsa_system_sgpr_workgroup_id_z 0
		.amdhsa_system_sgpr_workgroup_info 0
		.amdhsa_system_vgpr_workitem_id 0
		.amdhsa_next_free_vgpr 135
		.amdhsa_next_free_sgpr 28
		.amdhsa_reserve_vcc 1
		.amdhsa_reserve_flat_scratch 0
		.amdhsa_float_round_mode_32 0
		.amdhsa_float_round_mode_16_64 0
		.amdhsa_float_denorm_mode_32 3
		.amdhsa_float_denorm_mode_16_64 3
		.amdhsa_dx10_clamp 1
		.amdhsa_ieee_mode 1
		.amdhsa_fp16_overflow 0
		.amdhsa_exception_fp_ieee_invalid_op 0
		.amdhsa_exception_fp_denorm_src 0
		.amdhsa_exception_fp_ieee_div_zero 0
		.amdhsa_exception_fp_ieee_overflow 0
		.amdhsa_exception_fp_ieee_underflow 0
		.amdhsa_exception_fp_ieee_inexact 0
		.amdhsa_exception_int_div_zero 0
	.end_amdhsa_kernel
	.text
.Lfunc_end0:
	.size	fft_rtc_fwd_len1326_factors_17_6_13_wgs_204_tpt_102_halfLds_sp_op_CI_CI_unitstride_sbrr_dirReg, .Lfunc_end0-fft_rtc_fwd_len1326_factors_17_6_13_wgs_204_tpt_102_halfLds_sp_op_CI_CI_unitstride_sbrr_dirReg
                                        ; -- End function
	.section	.AMDGPU.csdata,"",@progbits
; Kernel info:
; codeLenInByte = 12204
; NumSgprs: 32
; NumVgprs: 135
; ScratchSize: 0
; MemoryBound: 0
; FloatMode: 240
; IeeeMode: 1
; LDSByteSize: 0 bytes/workgroup (compile time only)
; SGPRBlocks: 3
; VGPRBlocks: 33
; NumSGPRsForWavesPerEU: 32
; NumVGPRsForWavesPerEU: 135
; Occupancy: 1
; WaveLimiterHint : 1
; COMPUTE_PGM_RSRC2:SCRATCH_EN: 0
; COMPUTE_PGM_RSRC2:USER_SGPR: 6
; COMPUTE_PGM_RSRC2:TRAP_HANDLER: 0
; COMPUTE_PGM_RSRC2:TGID_X_EN: 1
; COMPUTE_PGM_RSRC2:TGID_Y_EN: 0
; COMPUTE_PGM_RSRC2:TGID_Z_EN: 0
; COMPUTE_PGM_RSRC2:TIDIG_COMP_CNT: 0
	.type	__hip_cuid_313b7a032f15a503,@object ; @__hip_cuid_313b7a032f15a503
	.section	.bss,"aw",@nobits
	.globl	__hip_cuid_313b7a032f15a503
__hip_cuid_313b7a032f15a503:
	.byte	0                               ; 0x0
	.size	__hip_cuid_313b7a032f15a503, 1

	.ident	"AMD clang version 19.0.0git (https://github.com/RadeonOpenCompute/llvm-project roc-6.4.0 25133 c7fe45cf4b819c5991fe208aaa96edf142730f1d)"
	.section	".note.GNU-stack","",@progbits
	.addrsig
	.addrsig_sym __hip_cuid_313b7a032f15a503
	.amdgpu_metadata
---
amdhsa.kernels:
  - .args:
      - .actual_access:  read_only
        .address_space:  global
        .offset:         0
        .size:           8
        .value_kind:     global_buffer
      - .offset:         8
        .size:           8
        .value_kind:     by_value
      - .actual_access:  read_only
        .address_space:  global
        .offset:         16
        .size:           8
        .value_kind:     global_buffer
      - .actual_access:  read_only
        .address_space:  global
        .offset:         24
        .size:           8
        .value_kind:     global_buffer
      - .actual_access:  read_only
        .address_space:  global
        .offset:         32
        .size:           8
        .value_kind:     global_buffer
      - .offset:         40
        .size:           8
        .value_kind:     by_value
      - .actual_access:  read_only
        .address_space:  global
        .offset:         48
        .size:           8
        .value_kind:     global_buffer
      - .actual_access:  read_only
        .address_space:  global
        .offset:         56
        .size:           8
        .value_kind:     global_buffer
      - .offset:         64
        .size:           4
        .value_kind:     by_value
      - .actual_access:  read_only
        .address_space:  global
        .offset:         72
        .size:           8
        .value_kind:     global_buffer
      - .actual_access:  read_only
        .address_space:  global
        .offset:         80
        .size:           8
        .value_kind:     global_buffer
      - .actual_access:  read_only
        .address_space:  global
        .offset:         88
        .size:           8
        .value_kind:     global_buffer
      - .actual_access:  write_only
        .address_space:  global
        .offset:         96
        .size:           8
        .value_kind:     global_buffer
    .group_segment_fixed_size: 0
    .kernarg_segment_align: 8
    .kernarg_segment_size: 104
    .language:       OpenCL C
    .language_version:
      - 2
      - 0
    .max_flat_workgroup_size: 204
    .name:           fft_rtc_fwd_len1326_factors_17_6_13_wgs_204_tpt_102_halfLds_sp_op_CI_CI_unitstride_sbrr_dirReg
    .private_segment_fixed_size: 0
    .sgpr_count:     32
    .sgpr_spill_count: 0
    .symbol:         fft_rtc_fwd_len1326_factors_17_6_13_wgs_204_tpt_102_halfLds_sp_op_CI_CI_unitstride_sbrr_dirReg.kd
    .uniform_work_group_size: 1
    .uses_dynamic_stack: false
    .vgpr_count:     135
    .vgpr_spill_count: 0
    .wavefront_size: 64
amdhsa.target:   amdgcn-amd-amdhsa--gfx906
amdhsa.version:
  - 1
  - 2
...

	.end_amdgpu_metadata
